;; amdgpu-corpus repo=ROCm/rocFFT kind=compiled arch=gfx1201 opt=O3
	.text
	.amdgcn_target "amdgcn-amd-amdhsa--gfx1201"
	.amdhsa_code_object_version 6
	.protected	fft_rtc_back_len1530_factors_17_3_6_5_wgs_102_tpt_102_halfLds_sp_op_CI_CI_unitstride_sbrr_C2R_dirReg ; -- Begin function fft_rtc_back_len1530_factors_17_3_6_5_wgs_102_tpt_102_halfLds_sp_op_CI_CI_unitstride_sbrr_C2R_dirReg
	.globl	fft_rtc_back_len1530_factors_17_3_6_5_wgs_102_tpt_102_halfLds_sp_op_CI_CI_unitstride_sbrr_C2R_dirReg
	.p2align	8
	.type	fft_rtc_back_len1530_factors_17_3_6_5_wgs_102_tpt_102_halfLds_sp_op_CI_CI_unitstride_sbrr_C2R_dirReg,@function
fft_rtc_back_len1530_factors_17_3_6_5_wgs_102_tpt_102_halfLds_sp_op_CI_CI_unitstride_sbrr_C2R_dirReg: ; @fft_rtc_back_len1530_factors_17_3_6_5_wgs_102_tpt_102_halfLds_sp_op_CI_CI_unitstride_sbrr_C2R_dirReg
; %bb.0:
	s_clause 0x2
	s_load_b128 s[8:11], s[0:1], 0x0
	s_load_b128 s[4:7], s[0:1], 0x58
	;; [unrolled: 1-line block ×3, first 2 shown]
	v_mul_u32_u24_e32 v1, 0x283, v0
	v_mov_b32_e32 v3, 0
	s_delay_alu instid0(VALU_DEP_2) | instskip(NEXT) | instid1(VALU_DEP_1)
	v_lshrrev_b32_e32 v1, 16, v1
	v_add_nc_u32_e32 v5, ttmp9, v1
	v_mov_b32_e32 v1, 0
	v_mov_b32_e32 v2, 0
	;; [unrolled: 1-line block ×3, first 2 shown]
	s_wait_kmcnt 0x0
	v_cmp_lt_u64_e64 s2, s[10:11], 2
	s_delay_alu instid0(VALU_DEP_1)
	s_and_b32 vcc_lo, exec_lo, s2
	s_cbranch_vccnz .LBB0_8
; %bb.1:
	s_load_b64 s[2:3], s[0:1], 0x10
	v_mov_b32_e32 v1, 0
	v_mov_b32_e32 v2, 0
	s_add_nc_u64 s[16:17], s[14:15], 8
	s_add_nc_u64 s[18:19], s[12:13], 8
	s_mov_b64 s[20:21], 1
	s_delay_alu instid0(VALU_DEP_1)
	v_dual_mov_b32 v39, v2 :: v_dual_mov_b32 v38, v1
	s_wait_kmcnt 0x0
	s_add_nc_u64 s[22:23], s[2:3], 8
	s_mov_b32 s3, 0
.LBB0_2:                                ; =>This Inner Loop Header: Depth=1
	s_load_b64 s[24:25], s[22:23], 0x0
                                        ; implicit-def: $vgpr42_vgpr43
	s_mov_b32 s2, exec_lo
	s_wait_kmcnt 0x0
	v_or_b32_e32 v4, s25, v6
	s_delay_alu instid0(VALU_DEP_1)
	v_cmpx_ne_u64_e32 0, v[3:4]
	s_wait_alu 0xfffe
	s_xor_b32 s26, exec_lo, s2
	s_cbranch_execz .LBB0_4
; %bb.3:                                ;   in Loop: Header=BB0_2 Depth=1
	s_cvt_f32_u32 s2, s24
	s_cvt_f32_u32 s27, s25
	s_sub_nc_u64 s[30:31], 0, s[24:25]
	s_wait_alu 0xfffe
	s_delay_alu instid0(SALU_CYCLE_1) | instskip(SKIP_1) | instid1(SALU_CYCLE_2)
	s_fmamk_f32 s2, s27, 0x4f800000, s2
	s_wait_alu 0xfffe
	v_s_rcp_f32 s2, s2
	s_delay_alu instid0(TRANS32_DEP_1) | instskip(SKIP_1) | instid1(SALU_CYCLE_2)
	s_mul_f32 s2, s2, 0x5f7ffffc
	s_wait_alu 0xfffe
	s_mul_f32 s27, s2, 0x2f800000
	s_wait_alu 0xfffe
	s_delay_alu instid0(SALU_CYCLE_2) | instskip(SKIP_1) | instid1(SALU_CYCLE_2)
	s_trunc_f32 s27, s27
	s_wait_alu 0xfffe
	s_fmamk_f32 s2, s27, 0xcf800000, s2
	s_cvt_u32_f32 s29, s27
	s_wait_alu 0xfffe
	s_delay_alu instid0(SALU_CYCLE_1) | instskip(SKIP_1) | instid1(SALU_CYCLE_2)
	s_cvt_u32_f32 s28, s2
	s_wait_alu 0xfffe
	s_mul_u64 s[34:35], s[30:31], s[28:29]
	s_wait_alu 0xfffe
	s_mul_hi_u32 s37, s28, s35
	s_mul_i32 s36, s28, s35
	s_mul_hi_u32 s2, s28, s34
	s_mul_i32 s33, s29, s34
	s_wait_alu 0xfffe
	s_add_nc_u64 s[36:37], s[2:3], s[36:37]
	s_mul_hi_u32 s27, s29, s34
	s_mul_hi_u32 s38, s29, s35
	s_add_co_u32 s2, s36, s33
	s_wait_alu 0xfffe
	s_add_co_ci_u32 s2, s37, s27
	s_mul_i32 s34, s29, s35
	s_add_co_ci_u32 s35, s38, 0
	s_wait_alu 0xfffe
	s_add_nc_u64 s[34:35], s[2:3], s[34:35]
	s_wait_alu 0xfffe
	v_add_co_u32 v4, s2, s28, s34
	s_delay_alu instid0(VALU_DEP_1) | instskip(SKIP_1) | instid1(VALU_DEP_1)
	s_cmp_lg_u32 s2, 0
	s_add_co_ci_u32 s29, s29, s35
	v_readfirstlane_b32 s28, v4
	s_wait_alu 0xfffe
	s_delay_alu instid0(VALU_DEP_1)
	s_mul_u64 s[30:31], s[30:31], s[28:29]
	s_wait_alu 0xfffe
	s_mul_hi_u32 s35, s28, s31
	s_mul_i32 s34, s28, s31
	s_mul_hi_u32 s2, s28, s30
	s_mul_i32 s33, s29, s30
	s_wait_alu 0xfffe
	s_add_nc_u64 s[34:35], s[2:3], s[34:35]
	s_mul_hi_u32 s27, s29, s30
	s_mul_hi_u32 s28, s29, s31
	s_wait_alu 0xfffe
	s_add_co_u32 s2, s34, s33
	s_add_co_ci_u32 s2, s35, s27
	s_mul_i32 s30, s29, s31
	s_add_co_ci_u32 s31, s28, 0
	s_wait_alu 0xfffe
	s_add_nc_u64 s[30:31], s[2:3], s[30:31]
	s_wait_alu 0xfffe
	v_add_co_u32 v4, s2, v4, s30
	s_delay_alu instid0(VALU_DEP_1) | instskip(SKIP_1) | instid1(VALU_DEP_1)
	s_cmp_lg_u32 s2, 0
	s_add_co_ci_u32 s2, s29, s31
	v_mul_hi_u32 v13, v5, v4
	s_wait_alu 0xfffe
	v_mad_co_u64_u32 v[7:8], null, v5, s2, 0
	v_mad_co_u64_u32 v[9:10], null, v6, v4, 0
	;; [unrolled: 1-line block ×3, first 2 shown]
	s_delay_alu instid0(VALU_DEP_3) | instskip(SKIP_1) | instid1(VALU_DEP_4)
	v_add_co_u32 v4, vcc_lo, v13, v7
	s_wait_alu 0xfffd
	v_add_co_ci_u32_e32 v7, vcc_lo, 0, v8, vcc_lo
	s_delay_alu instid0(VALU_DEP_2) | instskip(SKIP_1) | instid1(VALU_DEP_2)
	v_add_co_u32 v4, vcc_lo, v4, v9
	s_wait_alu 0xfffd
	v_add_co_ci_u32_e32 v4, vcc_lo, v7, v10, vcc_lo
	s_wait_alu 0xfffd
	v_add_co_ci_u32_e32 v7, vcc_lo, 0, v12, vcc_lo
	s_delay_alu instid0(VALU_DEP_2) | instskip(SKIP_1) | instid1(VALU_DEP_2)
	v_add_co_u32 v4, vcc_lo, v4, v11
	s_wait_alu 0xfffd
	v_add_co_ci_u32_e32 v9, vcc_lo, 0, v7, vcc_lo
	s_delay_alu instid0(VALU_DEP_2) | instskip(SKIP_1) | instid1(VALU_DEP_3)
	v_mul_lo_u32 v10, s25, v4
	v_mad_co_u64_u32 v[7:8], null, s24, v4, 0
	v_mul_lo_u32 v11, s24, v9
	s_delay_alu instid0(VALU_DEP_2) | instskip(NEXT) | instid1(VALU_DEP_2)
	v_sub_co_u32 v7, vcc_lo, v5, v7
	v_add3_u32 v8, v8, v11, v10
	s_delay_alu instid0(VALU_DEP_1) | instskip(SKIP_1) | instid1(VALU_DEP_1)
	v_sub_nc_u32_e32 v10, v6, v8
	s_wait_alu 0xfffd
	v_subrev_co_ci_u32_e64 v10, s2, s25, v10, vcc_lo
	v_add_co_u32 v11, s2, v4, 2
	s_wait_alu 0xf1ff
	v_add_co_ci_u32_e64 v12, s2, 0, v9, s2
	v_sub_co_u32 v13, s2, v7, s24
	v_sub_co_ci_u32_e32 v8, vcc_lo, v6, v8, vcc_lo
	s_wait_alu 0xf1ff
	v_subrev_co_ci_u32_e64 v10, s2, 0, v10, s2
	s_delay_alu instid0(VALU_DEP_3) | instskip(NEXT) | instid1(VALU_DEP_3)
	v_cmp_le_u32_e32 vcc_lo, s24, v13
	v_cmp_eq_u32_e64 s2, s25, v8
	s_wait_alu 0xfffd
	v_cndmask_b32_e64 v13, 0, -1, vcc_lo
	v_cmp_le_u32_e32 vcc_lo, s25, v10
	s_wait_alu 0xfffd
	v_cndmask_b32_e64 v14, 0, -1, vcc_lo
	v_cmp_le_u32_e32 vcc_lo, s24, v7
	;; [unrolled: 3-line block ×3, first 2 shown]
	s_wait_alu 0xfffd
	v_cndmask_b32_e64 v15, 0, -1, vcc_lo
	v_cmp_eq_u32_e32 vcc_lo, s25, v10
	s_wait_alu 0xf1ff
	s_delay_alu instid0(VALU_DEP_2)
	v_cndmask_b32_e64 v7, v15, v7, s2
	s_wait_alu 0xfffd
	v_cndmask_b32_e32 v10, v14, v13, vcc_lo
	v_add_co_u32 v13, vcc_lo, v4, 1
	s_wait_alu 0xfffd
	v_add_co_ci_u32_e32 v14, vcc_lo, 0, v9, vcc_lo
	s_delay_alu instid0(VALU_DEP_3) | instskip(SKIP_1) | instid1(VALU_DEP_2)
	v_cmp_ne_u32_e32 vcc_lo, 0, v10
	s_wait_alu 0xfffd
	v_cndmask_b32_e32 v8, v14, v12, vcc_lo
	v_cndmask_b32_e32 v10, v13, v11, vcc_lo
	v_cmp_ne_u32_e32 vcc_lo, 0, v7
	s_wait_alu 0xfffd
	s_delay_alu instid0(VALU_DEP_2)
	v_dual_cndmask_b32 v43, v9, v8 :: v_dual_cndmask_b32 v42, v4, v10
.LBB0_4:                                ;   in Loop: Header=BB0_2 Depth=1
	s_wait_alu 0xfffe
	s_and_not1_saveexec_b32 s2, s26
	s_cbranch_execz .LBB0_6
; %bb.5:                                ;   in Loop: Header=BB0_2 Depth=1
	v_cvt_f32_u32_e32 v4, s24
	s_sub_co_i32 s26, 0, s24
	v_mov_b32_e32 v43, v3
	s_delay_alu instid0(VALU_DEP_2) | instskip(NEXT) | instid1(TRANS32_DEP_1)
	v_rcp_iflag_f32_e32 v4, v4
	v_mul_f32_e32 v4, 0x4f7ffffe, v4
	s_delay_alu instid0(VALU_DEP_1) | instskip(SKIP_1) | instid1(VALU_DEP_1)
	v_cvt_u32_f32_e32 v4, v4
	s_wait_alu 0xfffe
	v_mul_lo_u32 v7, s26, v4
	s_delay_alu instid0(VALU_DEP_1) | instskip(NEXT) | instid1(VALU_DEP_1)
	v_mul_hi_u32 v7, v4, v7
	v_add_nc_u32_e32 v4, v4, v7
	s_delay_alu instid0(VALU_DEP_1) | instskip(NEXT) | instid1(VALU_DEP_1)
	v_mul_hi_u32 v4, v5, v4
	v_mul_lo_u32 v7, v4, s24
	v_add_nc_u32_e32 v8, 1, v4
	s_delay_alu instid0(VALU_DEP_2) | instskip(NEXT) | instid1(VALU_DEP_1)
	v_sub_nc_u32_e32 v7, v5, v7
	v_subrev_nc_u32_e32 v9, s24, v7
	v_cmp_le_u32_e32 vcc_lo, s24, v7
	s_wait_alu 0xfffd
	s_delay_alu instid0(VALU_DEP_2) | instskip(NEXT) | instid1(VALU_DEP_1)
	v_dual_cndmask_b32 v7, v7, v9 :: v_dual_cndmask_b32 v4, v4, v8
	v_cmp_le_u32_e32 vcc_lo, s24, v7
	s_delay_alu instid0(VALU_DEP_2) | instskip(SKIP_1) | instid1(VALU_DEP_1)
	v_add_nc_u32_e32 v8, 1, v4
	s_wait_alu 0xfffd
	v_cndmask_b32_e32 v42, v4, v8, vcc_lo
.LBB0_6:                                ;   in Loop: Header=BB0_2 Depth=1
	s_wait_alu 0xfffe
	s_or_b32 exec_lo, exec_lo, s2
	v_mul_lo_u32 v4, v43, s24
	s_delay_alu instid0(VALU_DEP_2)
	v_mul_lo_u32 v9, v42, s25
	s_load_b64 s[26:27], s[18:19], 0x0
	v_mad_co_u64_u32 v[7:8], null, v42, s24, 0
	s_load_b64 s[24:25], s[16:17], 0x0
	s_add_nc_u64 s[20:21], s[20:21], 1
	s_add_nc_u64 s[16:17], s[16:17], 8
	s_wait_alu 0xfffe
	v_cmp_ge_u64_e64 s2, s[20:21], s[10:11]
	s_add_nc_u64 s[18:19], s[18:19], 8
	s_add_nc_u64 s[22:23], s[22:23], 8
	v_add3_u32 v4, v8, v9, v4
	v_sub_co_u32 v5, vcc_lo, v5, v7
	s_wait_alu 0xfffd
	s_delay_alu instid0(VALU_DEP_2) | instskip(SKIP_2) | instid1(VALU_DEP_1)
	v_sub_co_ci_u32_e32 v4, vcc_lo, v6, v4, vcc_lo
	s_and_b32 vcc_lo, exec_lo, s2
	s_wait_kmcnt 0x0
	v_mul_lo_u32 v6, s26, v4
	v_mul_lo_u32 v7, s27, v5
	v_mad_co_u64_u32 v[1:2], null, s26, v5, v[1:2]
	v_mul_lo_u32 v4, s24, v4
	v_mul_lo_u32 v8, s25, v5
	v_mad_co_u64_u32 v[38:39], null, s24, v5, v[38:39]
	s_delay_alu instid0(VALU_DEP_4) | instskip(NEXT) | instid1(VALU_DEP_2)
	v_add3_u32 v2, v7, v2, v6
	v_add3_u32 v39, v8, v39, v4
	s_wait_alu 0xfffe
	s_cbranch_vccnz .LBB0_9
; %bb.7:                                ;   in Loop: Header=BB0_2 Depth=1
	v_dual_mov_b32 v5, v42 :: v_dual_mov_b32 v6, v43
	s_branch .LBB0_2
.LBB0_8:
	v_dual_mov_b32 v39, v2 :: v_dual_mov_b32 v38, v1
	v_dual_mov_b32 v43, v6 :: v_dual_mov_b32 v42, v5
.LBB0_9:
	s_load_b64 s[0:1], s[0:1], 0x28
	v_mul_hi_u32 v3, 0x2828283, v0
	s_lshl_b64 s[10:11], s[10:11], 3
                                        ; implicit-def: $vgpr40
	s_wait_alu 0xfffe
	s_add_nc_u64 s[2:3], s[14:15], s[10:11]
	s_wait_kmcnt 0x0
	v_cmp_gt_u64_e32 vcc_lo, s[0:1], v[42:43]
	v_cmp_le_u64_e64 s0, s[0:1], v[42:43]
	s_delay_alu instid0(VALU_DEP_1)
	s_and_saveexec_b32 s1, s0
	s_wait_alu 0xfffe
	s_xor_b32 s0, exec_lo, s1
; %bb.10:
	v_mul_u32_u24_e32 v1, 0x66, v3
                                        ; implicit-def: $vgpr3
	s_delay_alu instid0(VALU_DEP_1)
	v_sub_nc_u32_e32 v40, v0, v1
                                        ; implicit-def: $vgpr0
                                        ; implicit-def: $vgpr1_vgpr2
; %bb.11:
	s_wait_alu 0xfffe
	s_or_saveexec_b32 s1, s0
	s_load_b64 s[2:3], s[2:3], 0x0
	s_xor_b32 exec_lo, exec_lo, s1
	s_cbranch_execz .LBB0_15
; %bb.12:
	s_add_nc_u64 s[10:11], s[12:13], s[10:11]
	v_lshlrev_b64_e32 v[1:2], 3, v[1:2]
	s_load_b64 s[10:11], s[10:11], 0x0
	s_wait_kmcnt 0x0
	v_mul_lo_u32 v6, s11, v42
	v_mul_lo_u32 v7, s10, v43
	v_mad_co_u64_u32 v[4:5], null, s10, v42, 0
	s_delay_alu instid0(VALU_DEP_1) | instskip(SKIP_1) | instid1(VALU_DEP_2)
	v_add3_u32 v5, v5, v7, v6
	v_mul_u32_u24_e32 v6, 0x66, v3
	v_lshlrev_b64_e32 v[3:4], 3, v[4:5]
	s_delay_alu instid0(VALU_DEP_2) | instskip(NEXT) | instid1(VALU_DEP_1)
	v_sub_nc_u32_e32 v40, v0, v6
	v_lshlrev_b32_e32 v32, 3, v40
	s_delay_alu instid0(VALU_DEP_3) | instskip(SKIP_1) | instid1(VALU_DEP_4)
	v_add_co_u32 v0, s0, s4, v3
	s_wait_alu 0xf1ff
	v_add_co_ci_u32_e64 v3, s0, s5, v4, s0
	s_mov_b32 s4, exec_lo
	s_delay_alu instid0(VALU_DEP_2) | instskip(SKIP_1) | instid1(VALU_DEP_2)
	v_add_co_u32 v0, s0, v0, v1
	s_wait_alu 0xf1ff
	v_add_co_ci_u32_e64 v1, s0, v3, v2, s0
	s_delay_alu instid0(VALU_DEP_2) | instskip(SKIP_1) | instid1(VALU_DEP_2)
	v_add_co_u32 v2, s0, v0, v32
	s_wait_alu 0xf1ff
	v_add_co_ci_u32_e64 v3, s0, 0, v1, s0
	s_clause 0xe
	global_load_b64 v[4:5], v[2:3], off
	global_load_b64 v[6:7], v[2:3], off offset:816
	global_load_b64 v[8:9], v[2:3], off offset:1632
	;; [unrolled: 1-line block ×14, first 2 shown]
	v_add_nc_u32_e32 v32, 0, v32
	s_delay_alu instid0(VALU_DEP_1)
	v_add_nc_u32_e32 v33, 0x400, v32
	v_add_nc_u32_e32 v34, 0x800, v32
	;; [unrolled: 1-line block ×6, first 2 shown]
	s_wait_loadcnt 0xd
	ds_store_2addr_b64 v32, v[4:5], v[6:7] offset1:102
	s_wait_loadcnt 0xb
	ds_store_2addr_b64 v33, v[8:9], v[10:11] offset0:76 offset1:178
	s_wait_loadcnt 0x9
	ds_store_2addr_b64 v34, v[12:13], v[14:15] offset0:152 offset1:254
	;; [unrolled: 2-line block ×6, first 2 shown]
	s_wait_loadcnt 0x0
	ds_store_b64 v32, v[2:3] offset:11424
	v_cmpx_eq_u32_e32 0x65, v40
	s_cbranch_execz .LBB0_14
; %bb.13:
	global_load_b64 v[0:1], v[0:1], off offset:12240
	v_mov_b32_e32 v2, 0
	v_mov_b32_e32 v40, 0x65
	s_wait_loadcnt 0x0
	ds_store_b64 v2, v[0:1] offset:12240
.LBB0_14:
	s_wait_alu 0xfffe
	s_or_b32 exec_lo, exec_lo, s4
.LBB0_15:
	s_delay_alu instid0(SALU_CYCLE_1)
	s_or_b32 exec_lo, exec_lo, s1
	v_lshlrev_b32_e32 v0, 3, v40
	global_wb scope:SCOPE_SE
	s_wait_dscnt 0x0
	s_wait_kmcnt 0x0
	s_barrier_signal -1
	s_barrier_wait -1
	global_inv scope:SCOPE_SE
	v_add_nc_u32_e32 v46, 0, v0
	v_sub_nc_u32_e32 v4, 0, v0
	s_mov_b32 s1, exec_lo
                                        ; implicit-def: $vgpr0_vgpr1
	ds_load_b32 v5, v46
	ds_load_b32 v6, v4 offset:12240
	s_wait_dscnt 0x0
	v_dual_sub_f32 v3, v5, v6 :: v_dual_add_f32 v2, v6, v5
	v_cmpx_ne_u32_e32 0, v40
	s_wait_alu 0xfffe
	s_xor_b32 s1, exec_lo, s1
	s_cbranch_execz .LBB0_17
; %bb.16:
	v_dual_mov_b32 v41, 0 :: v_dual_sub_f32 v8, v5, v6
	s_delay_alu instid0(VALU_DEP_1) | instskip(NEXT) | instid1(VALU_DEP_1)
	v_lshlrev_b64_e32 v[0:1], 3, v[40:41]
	v_add_co_u32 v0, s0, s8, v0
	s_wait_alu 0xf1ff
	s_delay_alu instid0(VALU_DEP_2)
	v_add_co_ci_u32_e64 v1, s0, s9, v1, s0
	global_load_b64 v[0:1], v[0:1], off offset:12104
	ds_load_b32 v2, v4 offset:12244
	ds_load_b32 v3, v46 offset:4
	v_add_f32_e32 v7, v6, v5
	s_wait_dscnt 0x0
	v_dual_add_f32 v9, v2, v3 :: v_dual_sub_f32 v2, v3, v2
	s_wait_loadcnt 0x0
	s_delay_alu instid0(VALU_DEP_2) | instskip(NEXT) | instid1(VALU_DEP_2)
	v_fma_f32 v5, -v8, v1, v7
	v_fma_f32 v6, v9, v1, -v2
	v_fma_f32 v10, v8, v1, v7
	s_delay_alu instid0(VALU_DEP_2) | instskip(SKIP_2) | instid1(VALU_DEP_4)
	v_fmac_f32_e32 v6, v8, v0
	v_fma_f32 v3, v9, v1, v2
	v_fmac_f32_e32 v5, v0, v9
	v_fma_f32 v2, -v0, v9, v10
	s_delay_alu instid0(VALU_DEP_3)
	v_fmac_f32_e32 v3, v8, v0
	v_dual_mov_b32 v0, v40 :: v_dual_mov_b32 v1, v41
	ds_store_b64 v4, v[5:6] offset:12240
.LBB0_17:
	s_wait_alu 0xfffe
	s_and_not1_saveexec_b32 s0, s1
	s_cbranch_execz .LBB0_19
; %bb.18:
	v_mov_b32_e32 v7, 0
	ds_load_b64 v[0:1], v7 offset:6120
	s_wait_dscnt 0x0
	v_dual_mul_f32 v6, -2.0, v1 :: v_dual_add_f32 v5, v0, v0
	v_mov_b32_e32 v0, 0
	v_mov_b32_e32 v1, 0
	ds_store_b64 v7, v[5:6] offset:6120
.LBB0_19:
	s_wait_alu 0xfffe
	s_or_b32 exec_lo, exec_lo, s0
	v_lshlrev_b64_e32 v[0:1], 3, v[0:1]
	s_add_nc_u64 s[0:1], s[8:9], 0x2f48
	s_wait_alu 0xfffe
	s_delay_alu instid0(VALU_DEP_1) | instskip(SKIP_1) | instid1(VALU_DEP_2)
	v_add_co_u32 v0, s0, s0, v0
	s_wait_alu 0xf1ff
	v_add_co_ci_u32_e64 v1, s0, s1, v1, s0
	v_cmp_gt_u32_e64 s0, 51, v40
	s_clause 0x5
	global_load_b64 v[5:6], v[0:1], off offset:816
	global_load_b64 v[7:8], v[0:1], off offset:1632
	;; [unrolled: 1-line block ×6, first 2 shown]
	ds_store_b64 v46, v[2:3]
	ds_load_b64 v[2:3], v46 offset:816
	ds_load_b64 v[17:18], v4 offset:11424
	s_wait_dscnt 0x0
	v_add_f32_e32 v19, v2, v17
	v_sub_f32_e32 v21, v2, v17
	v_add_f32_e32 v20, v18, v3
	v_sub_f32_e32 v2, v3, v18
	s_wait_loadcnt 0x5
	s_delay_alu instid0(VALU_DEP_1) | instskip(SKIP_2) | instid1(VALU_DEP_3)
	v_fma_f32 v3, v20, v6, v2
	v_fma_f32 v22, v21, v6, v19
	v_fma_f32 v17, -v21, v6, v19
	v_fmac_f32_e32 v3, v21, v5
	v_fma_f32 v18, v20, v6, -v2
	s_delay_alu instid0(VALU_DEP_4) | instskip(NEXT) | instid1(VALU_DEP_4)
	v_fma_f32 v2, -v5, v20, v22
	v_fmac_f32_e32 v17, v5, v20
	s_delay_alu instid0(VALU_DEP_3)
	v_fmac_f32_e32 v18, v21, v5
	ds_store_b64 v46, v[2:3] offset:816
	ds_store_b64 v4, v[17:18] offset:11424
	ds_load_b64 v[2:3], v46 offset:1632
	ds_load_b64 v[5:6], v4 offset:10608
	s_wait_dscnt 0x0
	v_add_f32_e32 v18, v6, v3
	v_sub_f32_e32 v19, v2, v5
	v_dual_add_f32 v17, v2, v5 :: v_dual_sub_f32 v2, v3, v6
	s_wait_loadcnt 0x4
	s_delay_alu instid0(VALU_DEP_1) | instskip(SKIP_1) | instid1(VALU_DEP_2)
	v_fma_f32 v6, v18, v8, -v2
	v_fma_f32 v3, v18, v8, v2
	v_fmac_f32_e32 v6, v19, v7
	v_fma_f32 v20, v19, v8, v17
	v_fma_f32 v5, -v19, v8, v17
	s_delay_alu instid0(VALU_DEP_4) | instskip(NEXT) | instid1(VALU_DEP_3)
	v_fmac_f32_e32 v3, v19, v7
	v_fma_f32 v2, -v7, v18, v20
	s_delay_alu instid0(VALU_DEP_3)
	v_fmac_f32_e32 v5, v7, v18
	ds_store_b64 v46, v[2:3] offset:1632
	ds_store_b64 v4, v[5:6] offset:10608
	ds_load_b64 v[2:3], v46 offset:2448
	ds_load_b64 v[5:6], v4 offset:9792
	s_wait_dscnt 0x0
	v_add_f32_e32 v8, v6, v3
	v_add_f32_e32 v7, v2, v5
	v_dual_sub_f32 v17, v2, v5 :: v_dual_sub_f32 v2, v3, v6
	s_wait_loadcnt 0x3
	s_delay_alu instid0(VALU_DEP_1) | instskip(NEXT) | instid1(VALU_DEP_2)
	v_fma_f32 v18, v17, v10, v7
	v_fma_f32 v3, v8, v10, v2
	v_fma_f32 v5, -v17, v10, v7
	v_fma_f32 v6, v8, v10, -v2
	s_delay_alu instid0(VALU_DEP_4) | instskip(NEXT) | instid1(VALU_DEP_4)
	v_fma_f32 v2, -v9, v8, v18
	v_fmac_f32_e32 v3, v17, v9
	s_delay_alu instid0(VALU_DEP_4) | instskip(NEXT) | instid1(VALU_DEP_4)
	v_fmac_f32_e32 v5, v9, v8
	v_fmac_f32_e32 v6, v17, v9
	ds_store_b64 v46, v[2:3] offset:2448
	ds_store_b64 v4, v[5:6] offset:9792
	ds_load_b64 v[2:3], v46 offset:3264
	ds_load_b64 v[5:6], v4 offset:8976
	s_wait_dscnt 0x0
	v_add_f32_e32 v7, v2, v5
	v_add_f32_e32 v8, v6, v3
	v_dual_sub_f32 v9, v2, v5 :: v_dual_sub_f32 v2, v3, v6
	s_wait_loadcnt 0x2
	s_delay_alu instid0(VALU_DEP_1) | instskip(NEXT) | instid1(VALU_DEP_2)
	v_fma_f32 v10, v9, v12, v7
	v_fma_f32 v3, v8, v12, v2
	v_fma_f32 v5, -v9, v12, v7
	v_fma_f32 v6, v8, v12, -v2
	s_delay_alu instid0(VALU_DEP_4) | instskip(NEXT) | instid1(VALU_DEP_4)
	v_fma_f32 v2, -v11, v8, v10
	v_fmac_f32_e32 v3, v9, v11
	s_delay_alu instid0(VALU_DEP_3)
	v_dual_fmac_f32 v5, v11, v8 :: v_dual_fmac_f32 v6, v9, v11
	ds_store_b64 v46, v[2:3] offset:3264
	ds_store_b64 v4, v[5:6] offset:8976
	ds_load_b64 v[2:3], v46 offset:4080
	ds_load_b64 v[5:6], v4 offset:8160
	s_wait_dscnt 0x0
	v_add_f32_e32 v7, v2, v5
	v_sub_f32_e32 v9, v2, v5
	v_add_f32_e32 v8, v6, v3
	v_sub_f32_e32 v2, v3, v6
	s_wait_loadcnt 0x1
	s_delay_alu instid0(VALU_DEP_3) | instskip(SKIP_1) | instid1(VALU_DEP_3)
	v_fma_f32 v10, v9, v14, v7
	v_fma_f32 v5, -v9, v14, v7
	v_fma_f32 v3, v8, v14, v2
	s_delay_alu instid0(VALU_DEP_1) | instskip(SKIP_3) | instid1(VALU_DEP_3)
	v_fmac_f32_e32 v3, v9, v13
	v_fma_f32 v6, v8, v14, -v2
	v_fma_f32 v2, -v13, v8, v10
	v_fmac_f32_e32 v5, v13, v8
	v_fmac_f32_e32 v6, v9, v13
	ds_store_b64 v46, v[2:3] offset:4080
	ds_store_b64 v4, v[5:6] offset:8160
	ds_load_b64 v[2:3], v46 offset:4896
	ds_load_b64 v[5:6], v4 offset:7344
	s_wait_dscnt 0x0
	v_add_f32_e32 v7, v2, v5
	v_add_f32_e32 v8, v6, v3
	v_dual_sub_f32 v9, v2, v5 :: v_dual_sub_f32 v2, v3, v6
	s_wait_loadcnt 0x0
	s_delay_alu instid0(VALU_DEP_1) | instskip(NEXT) | instid1(VALU_DEP_2)
	v_fma_f32 v10, v9, v16, v7
	v_fma_f32 v3, v8, v16, v2
	v_fma_f32 v5, -v9, v16, v7
	v_fma_f32 v6, v8, v16, -v2
	s_delay_alu instid0(VALU_DEP_4) | instskip(NEXT) | instid1(VALU_DEP_4)
	v_fma_f32 v2, -v15, v8, v10
	v_fmac_f32_e32 v3, v9, v15
	s_delay_alu instid0(VALU_DEP_3)
	v_dual_fmac_f32 v5, v15, v8 :: v_dual_fmac_f32 v6, v9, v15
	ds_store_b64 v46, v[2:3] offset:4896
	ds_store_b64 v4, v[5:6] offset:7344
	s_and_saveexec_b32 s1, s0
	s_cbranch_execz .LBB0_21
; %bb.20:
	global_load_b64 v[0:1], v[0:1], off offset:5712
	ds_load_b64 v[2:3], v46 offset:5712
	ds_load_b64 v[5:6], v4 offset:6528
	s_wait_dscnt 0x0
	v_dual_add_f32 v8, v6, v3 :: v_dual_sub_f32 v3, v3, v6
	v_sub_f32_e32 v9, v2, v5
	v_add_f32_e32 v7, v2, v5
	s_wait_loadcnt 0x0
	s_delay_alu instid0(VALU_DEP_3) | instskip(SKIP_1) | instid1(VALU_DEP_2)
	v_fma_f32 v2, v8, v1, v3
	v_fma_f32 v6, v8, v1, -v3
	v_fmac_f32_e32 v2, v9, v0
	v_fma_f32 v10, v9, v1, v7
	v_fma_f32 v5, -v9, v1, v7
	s_delay_alu instid0(VALU_DEP_4) | instskip(NEXT) | instid1(VALU_DEP_3)
	v_fmac_f32_e32 v6, v9, v0
	v_fma_f32 v1, -v0, v8, v10
	s_delay_alu instid0(VALU_DEP_3)
	v_fmac_f32_e32 v5, v0, v8
	ds_store_b64 v46, v[1:2] offset:5712
	ds_store_b64 v4, v[5:6] offset:6528
.LBB0_21:
	s_wait_alu 0xfffe
	s_or_b32 exec_lo, exec_lo, s1
	global_wb scope:SCOPE_SE
	s_wait_dscnt 0x0
	s_barrier_signal -1
	s_barrier_wait -1
	global_inv scope:SCOPE_SE
	global_wb scope:SCOPE_SE
	s_barrier_signal -1
	s_barrier_wait -1
	global_inv scope:SCOPE_SE
	ds_load_2addr_b64 v[6:9], v46 offset1:90
	ds_load_b64 v[44:45], v46 offset:11520
	v_add_nc_u32_e32 v47, 0x400, v46
	v_add_nc_u32_e32 v41, 0x2400, v46
	;; [unrolled: 1-line block ×6, first 2 shown]
	s_mov_b32 s4, exec_lo
	s_wait_dscnt 0x0
	v_dual_add_f32 v87, v45, v9 :: v_dual_add_f32 v52, v44, v8
	ds_load_2addr_b64 v[22:25], v47 offset0:52 offset1:142
	ds_load_2addr_b64 v[10:13], v41 offset0:108 offset1:198
	v_sub_f32_e32 v83, v9, v45
	ds_load_2addr_b64 v[26:29], v51 offset0:104 offset1:194
	v_sub_f32_e32 v55, v8, v44
	ds_load_2addr_b64 v[18:21], v50 offset0:28 offset1:118
	ds_load_2addr_b64 v[14:17], v0 offset0:56 offset1:146
	v_add_nc_u32_e32 v49, 0x1800, v46
	v_mul_f32_e32 v68, 0xbeb8f4ab, v83
	v_mul_f32_e32 v70, 0x3f6eb680, v87
	ds_load_2addr_b64 v[34:37], v48 offset0:80 offset1:170
	v_mul_f32_e32 v114, 0x3f3d2fb0, v87
	s_wait_dscnt 0x4
	v_dual_mul_f32 v100, 0xbf2c7751, v83 :: v_dual_sub_f32 v85, v23, v13
	v_fma_f32 v0, 0x3f6eb680, v52, -v68
	v_dual_add_f32 v53, v12, v22 :: v_dual_add_f32 v86, v13, v23
	v_dual_fmamk_f32 v1, v55, 0xbeb8f4ab, v70 :: v_dual_sub_f32 v88, v25, v11
	s_delay_alu instid0(VALU_DEP_4) | instskip(NEXT) | instid1(VALU_DEP_4)
	v_dual_mul_f32 v69, 0xbf2c7751, v85 :: v_dual_add_f32 v56, v10, v24
	v_add_f32_e32 v0, v6, v0
	s_delay_alu instid0(VALU_DEP_4)
	v_dual_sub_f32 v54, v22, v12 :: v_dual_mul_f32 v75, 0x3f3d2fb0, v86
	s_wait_dscnt 0x1
	v_sub_f32_e32 v90, v27, v17
	v_fma_f32 v2, 0x3f3d2fb0, v53, -v69
	v_add_f32_e32 v89, v11, v25
	ds_load_2addr_b64 v[30:33], v49 offset0:132 offset1:222
	v_dual_add_f32 v1, v7, v1 :: v_dual_add_f32 v58, v16, v26
	v_add_f32_e32 v0, v2, v0
	v_dual_fmamk_f32 v2, v54, 0xbf2c7751, v75 :: v_dual_sub_f32 v57, v24, v10
	v_mul_f32_e32 v73, 0x3ee437d1, v89
	v_mul_f32_e32 v71, 0xbf65296c, v88
	s_delay_alu instid0(VALU_DEP_3) | instskip(SKIP_1) | instid1(VALU_DEP_4)
	v_dual_mul_f32 v72, 0xbf7ee86f, v90 :: v_dual_add_f32 v1, v2, v1
	v_dual_sub_f32 v95, v29, v15 :: v_dual_add_f32 v60, v14, v28
	v_fmamk_f32 v2, v57, 0xbf65296c, v73
	s_delay_alu instid0(VALU_DEP_4) | instskip(SKIP_2) | instid1(VALU_DEP_3)
	v_fma_f32 v3, 0x3ee437d1, v56, -v71
	v_add_f32_e32 v94, v17, v27
	v_dual_add_f32 v96, v15, v29 :: v_dual_sub_f32 v61, v28, v14
	v_dual_add_f32 v1, v2, v1 :: v_dual_add_f32 v0, v3, v0
	s_delay_alu instid0(VALU_DEP_3) | instskip(SKIP_4) | instid1(VALU_DEP_3)
	v_dual_sub_f32 v59, v26, v16 :: v_dual_mul_f32 v78, 0x3dbcf732, v94
	v_fma_f32 v2, 0x3dbcf732, v58, -v72
	s_wait_dscnt 0x0
	v_add_f32_e32 v99, v33, v19
	v_dual_sub_f32 v97, v19, v33 :: v_dual_add_f32 v62, v32, v18
	v_dual_sub_f32 v103, v21, v31 :: v_dual_add_f32 v0, v2, v0
	v_fmamk_f32 v2, v59, 0xbf7ee86f, v78
	v_mul_f32_e32 v74, 0xbf763a35, v95
	s_delay_alu instid0(VALU_DEP_4)
	v_mul_f32_e32 v77, 0xbf4c4adb, v97
	v_sub_f32_e32 v63, v18, v32
	v_dual_mul_f32 v81, 0xbf1a4643, v99 :: v_dual_add_f32 v108, v31, v21
	v_dual_add_f32 v1, v2, v1 :: v_dual_mul_f32 v76, 0xbe8c1d8e, v96
	v_fma_f32 v3, 0xbe8c1d8e, v60, -v74
	v_dual_add_f32 v64, v30, v20 :: v_dual_mul_f32 v79, 0xbf06c442, v103
	s_delay_alu instid0(VALU_DEP_4) | instskip(NEXT) | instid1(VALU_DEP_4)
	v_dual_sub_f32 v65, v20, v30 :: v_dual_mul_f32 v80, 0xbf59a7d5, v108
	v_fmamk_f32 v2, v61, 0xbf763a35, v76
	s_delay_alu instid0(VALU_DEP_4) | instskip(SKIP_2) | instid1(VALU_DEP_4)
	v_add_f32_e32 v0, v3, v0
	v_sub_f32_e32 v115, v35, v37
	v_dual_add_f32 v117, v37, v35 :: v_dual_mul_f32 v104, 0xbf7ee86f, v85
	v_add_f32_e32 v1, v2, v1
	v_fma_f32 v2, 0xbf1a4643, v62, -v77
	v_fmamk_f32 v3, v63, 0xbf4c4adb, v81
	v_dual_fmamk_f32 v4, v55, 0xbf2c7751, v114 :: v_dual_sub_f32 v67, v34, v36
	v_mul_f32_e32 v105, 0xbf4c4adb, v88
	s_delay_alu instid0(VALU_DEP_4) | instskip(SKIP_4) | instid1(VALU_DEP_4)
	v_add_f32_e32 v0, v2, v0
	v_fma_f32 v2, 0xbf59a7d5, v64, -v79
	v_add_f32_e32 v1, v3, v1
	v_fmamk_f32 v3, v65, 0xbf06c442, v80
	v_dual_mul_f32 v111, 0xbf7ba420, v94 :: v_dual_mul_f32 v84, 0xbf7ba420, v117
	v_add_f32_e32 v0, v2, v0
	v_fma_f32 v2, 0x3f3d2fb0, v52, -v100
	s_delay_alu instid0(VALU_DEP_4) | instskip(SKIP_2) | instid1(VALU_DEP_4)
	v_dual_mul_f32 v116, 0x3dbcf732, v86 :: v_dual_add_f32 v1, v3, v1
	v_fma_f32 v3, 0x3dbcf732, v53, -v104
	v_add_f32_e32 v4, v7, v4
	v_add_f32_e32 v2, v6, v2
	s_delay_alu instid0(VALU_DEP_4) | instskip(SKIP_3) | instid1(VALU_DEP_4)
	v_fmamk_f32 v5, v54, 0xbf7ee86f, v116
	v_mul_f32_e32 v110, 0xbf1a4643, v89
	v_add_f32_e32 v66, v36, v34
	v_mul_f32_e32 v106, 0xbe3c28d5, v90
	v_dual_add_f32 v2, v3, v2 :: v_dual_add_f32 v3, v5, v4
	v_fma_f32 v4, 0xbf1a4643, v56, -v105
	v_fmamk_f32 v5, v57, 0xbf4c4adb, v110
	v_mul_f32_e32 v107, 0x3f06c442, v95
	v_mul_f32_e32 v98, 0x3f6eb680, v117
	;; [unrolled: 1-line block ×3, first 2 shown]
	v_dual_mul_f32 v82, 0xbe3c28d5, v115 :: v_dual_fmamk_f32 v93, v67, 0xbe3c28d5, v84
	v_dual_add_f32 v3, v5, v3 :: v_dual_add_f32 v2, v4, v2
	v_fmamk_f32 v5, v59, 0xbe3c28d5, v111
	v_fma_f32 v4, 0xbf7ba420, v58, -v106
	v_mul_f32_e32 v112, 0xbf59a7d5, v96
	v_fmamk_f32 v119, v67, 0x3eb8f4ab, v98
	v_fma_f32 v118, 0x3f6eb680, v66, -v92
	s_delay_alu instid0(VALU_DEP_4) | instskip(NEXT) | instid1(VALU_DEP_4)
	v_dual_add_f32 v3, v5, v3 :: v_dual_add_f32 v2, v4, v2
	v_fmamk_f32 v5, v61, 0x3f06c442, v112
	v_fma_f32 v4, 0xbf59a7d5, v60, -v107
	v_mul_f32_e32 v101, 0x3f763a35, v97
	v_mul_f32_e32 v109, 0x3ee437d1, v108
	;; [unrolled: 1-line block ×3, first 2 shown]
	s_delay_alu instid0(VALU_DEP_4) | instskip(NEXT) | instid1(VALU_DEP_4)
	v_dual_add_f32 v3, v5, v3 :: v_dual_add_f32 v2, v4, v2
	v_fma_f32 v4, 0xbe8c1d8e, v62, -v101
	v_mul_f32_e32 v113, 0xbe8c1d8e, v99
	v_fma_f32 v91, 0xbf7ba420, v66, -v82
	global_wb scope:SCOPE_SE
	s_barrier_signal -1
	v_add_f32_e32 v2, v4, v2
	v_fma_f32 v4, 0x3ee437d1, v64, -v102
	v_fmamk_f32 v5, v63, 0x3f763a35, v113
	s_barrier_wait -1
	global_inv scope:SCOPE_SE
	v_dual_add_f32 v2, v4, v2 :: v_dual_add_f32 v3, v5, v3
	v_add_f32_e32 v4, v91, v0
	s_delay_alu instid0(VALU_DEP_2) | instskip(NEXT) | instid1(VALU_DEP_1)
	v_dual_add_f32 v2, v118, v2 :: v_dual_fmamk_f32 v5, v65, 0x3f65296c, v109
	v_add_f32_e32 v3, v5, v3
	v_add_f32_e32 v5, v93, v1
	s_delay_alu instid0(VALU_DEP_2)
	v_add_f32_e32 v3, v119, v3
	v_cmpx_gt_u32_e32 0x5a, v40
	s_cbranch_execz .LBB0_23
; %bb.22:
	v_dual_mul_f32 v93, 0xbf7ba420, v87 :: v_dual_add_f32 v0, v7, v9
	v_dual_add_f32 v1, v6, v8 :: v_dual_mul_f32 v122, 0xbf59a7d5, v89
	v_mul_f32_e32 v119, 0xbf1a4643, v96
	s_delay_alu instid0(VALU_DEP_3) | instskip(NEXT) | instid1(VALU_DEP_3)
	v_fmamk_f32 v8, v55, 0x3e3c28d5, v93
	v_dual_add_f32 v0, v0, v23 :: v_dual_add_f32 v1, v1, v22
	v_mul_f32_e32 v91, 0x3f6eb680, v86
	v_mul_f32_e32 v120, 0x3f3d2fb0, v94
	s_delay_alu instid0(VALU_DEP_4) | instskip(NEXT) | instid1(VALU_DEP_4)
	v_add_f32_e32 v8, v7, v8
	v_dual_add_f32 v0, v0, v25 :: v_dual_add_f32 v1, v1, v24
	s_delay_alu instid0(VALU_DEP_4) | instskip(SKIP_2) | instid1(VALU_DEP_4)
	v_fmamk_f32 v9, v54, 0xbeb8f4ab, v91
	v_mul_f32_e32 v123, 0x3eb8f4ab, v85
	v_mul_f32_e32 v118, 0x3ee437d1, v99
	v_dual_mul_f32 v124, 0xbe3c28d5, v83 :: v_dual_add_f32 v1, v1, v26
	s_delay_alu instid0(VALU_DEP_4) | instskip(NEXT) | instid1(VALU_DEP_4)
	v_add_f32_e32 v8, v9, v8
	v_fmamk_f32 v24, v53, 0x3f6eb680, v123
	v_fmamk_f32 v126, v57, 0x3f06c442, v122
	;; [unrolled: 1-line block ×3, first 2 shown]
	v_dual_mul_f32 v121, 0xbe8c1d8e, v108 :: v_dual_add_f32 v0, v0, v27
	v_mul_f32_e32 v125, 0xbf06c442, v88
	s_delay_alu instid0(VALU_DEP_4) | instskip(SKIP_1) | instid1(VALU_DEP_4)
	v_dual_add_f32 v8, v126, v8 :: v_dual_fmamk_f32 v23, v63, 0xbf65296c, v118
	v_dual_add_f32 v1, v1, v28 :: v_dual_mul_f32 v126, 0x3f2c7751, v90
	v_add_f32_e32 v0, v0, v29
	s_delay_alu instid0(VALU_DEP_3) | instskip(NEXT) | instid1(VALU_DEP_3)
	v_dual_add_f32 v8, v9, v8 :: v_dual_fmamk_f32 v9, v52, 0xbf7ba420, v124
	v_dual_add_f32 v1, v1, v18 :: v_dual_fmamk_f32 v18, v58, 0x3f3d2fb0, v126
	s_delay_alu instid0(VALU_DEP_3) | instskip(SKIP_1) | instid1(VALU_DEP_4)
	v_add_f32_e32 v0, v0, v19
	v_mul_f32_e32 v127, 0xbf4c4adb, v95
	v_add_f32_e32 v9, v6, v9
	s_delay_alu instid0(VALU_DEP_4) | instskip(SKIP_4) | instid1(VALU_DEP_3)
	v_add_f32_e32 v1, v1, v20
	v_mul_f32_e32 v130, 0x3f6eb680, v96
	v_add_f32_e32 v0, v0, v21
	v_dual_mul_f32 v28, 0xbe8c1d8e, v117 :: v_dual_mul_f32 v131, 0xbe8c1d8e, v87
	v_dual_add_f32 v9, v24, v9 :: v_dual_fmamk_f32 v22, v61, 0x3f4c4adb, v119
	v_dual_add_f32 v0, v0, v35 :: v_dual_add_f32 v1, v1, v34
	v_mul_f32_e32 v35, 0xbf59a7d5, v87
	v_mul_f32_e32 v26, 0x3f65296c, v85
	s_delay_alu instid0(VALU_DEP_4) | instskip(NEXT) | instid1(VALU_DEP_4)
	v_add_f32_e32 v8, v22, v8
	v_add_f32_e32 v0, v0, v37
	v_mul_f32_e32 v160, 0x3f3d2fb0, v99
	v_mul_f32_e32 v24, 0x3f2c7751, v103
	;; [unrolled: 1-line block ×3, first 2 shown]
	v_dual_add_f32 v8, v23, v8 :: v_dual_fmamk_f32 v23, v56, 0xbf59a7d5, v125
	v_dual_add_f32 v1, v1, v36 :: v_dual_mul_f32 v34, 0x3f65296c, v97
	v_mul_f32_e32 v158, 0x3f6eb680, v89
	s_delay_alu instid0(VALU_DEP_3) | instskip(NEXT) | instid1(VALU_DEP_3)
	v_dual_mul_f32 v154, 0xbe8c1d8e, v86 :: v_dual_add_f32 v9, v23, v9
	v_add_f32_e32 v1, v1, v30
	v_mul_f32_e32 v25, 0x3dbcf732, v117
	v_mul_f32_e32 v136, 0xbf06c442, v97
	s_delay_alu instid0(VALU_DEP_4) | instskip(SKIP_4) | instid1(VALU_DEP_4)
	v_dual_mul_f32 v138, 0xbf59a7d5, v86 :: v_dual_add_f32 v9, v18, v9
	v_fmamk_f32 v18, v60, 0xbf1a4643, v127
	v_fmamk_f32 v22, v65, 0x3f763a35, v121
	v_add_f32_e32 v21, v1, v32
	v_dual_fmamk_f32 v19, v67, 0xbf7ee86f, v25 :: v_dual_add_f32 v0, v0, v31
	v_add_f32_e32 v9, v18, v9
	s_delay_alu instid0(VALU_DEP_4) | instskip(SKIP_3) | instid1(VALU_DEP_4)
	v_add_f32_e32 v8, v22, v8
	v_fmamk_f32 v18, v62, 0x3ee437d1, v34
	v_dual_add_f32 v14, v21, v14 :: v_dual_mul_f32 v29, 0xbf06c442, v83
	v_add_f32_e32 v0, v0, v33
	v_dual_mul_f32 v36, 0x3ee437d1, v86 :: v_dual_add_f32 v1, v19, v8
	s_delay_alu instid0(VALU_DEP_3) | instskip(NEXT) | instid1(VALU_DEP_4)
	v_dual_add_f32 v14, v14, v16 :: v_dual_mul_f32 v21, 0x3f4c4adb, v90
	v_fmamk_f32 v16, v52, 0xbf59a7d5, v29
	v_add_f32_e32 v8, v18, v9
	v_dual_mul_f32 v32, 0xbf7ba420, v99 :: v_dual_mul_f32 v163, 0xbf7ba420, v108
	s_delay_alu instid0(VALU_DEP_4) | instskip(NEXT) | instid1(VALU_DEP_4)
	v_add_f32_e32 v10, v14, v10
	v_add_f32_e32 v16, v6, v16
	v_mul_f32_e32 v128, 0xbf1a4643, v94
	v_add_f32_e32 v0, v0, v15
	s_delay_alu instid0(VALU_DEP_4) | instskip(SKIP_1) | instid1(VALU_DEP_3)
	v_dual_mul_f32 v153, 0xbf1a4643, v87 :: v_dual_add_f32 v10, v10, v12
	v_mul_f32_e32 v33, 0x3dbcf732, v89
	v_dual_mul_f32 v37, 0x3f3d2fb0, v108 :: v_dual_add_f32 v0, v0, v17
	v_fmamk_f32 v17, v59, 0xbf4c4adb, v128
	v_fmamk_f32 v20, v55, 0x3f06c442, v35
	s_delay_alu instid0(VALU_DEP_4)
	v_fmamk_f32 v19, v57, 0x3f7ee86f, v33
	v_mul_f32_e32 v31, 0x3f7ee86f, v115
	v_add_f32_e32 v0, v0, v11
	v_fmamk_f32 v22, v54, 0xbf65296c, v36
	v_add_f32_e32 v20, v7, v20
	v_fmamk_f32 v12, v61, 0x3eb8f4ab, v130
	v_mul_f32_e32 v161, 0xbeb8f4ab, v88
	v_add_f32_e32 v13, v0, v13
	v_mul_f32_e32 v155, 0x3dbcf732, v96
	v_add_f32_e32 v18, v22, v20
	v_mul_f32_e32 v30, 0xbf763a35, v103
	v_mul_f32_e32 v22, 0xbeb8f4ab, v95
	;; [unrolled: 1-line block ×4, first 2 shown]
	v_add_f32_e32 v15, v19, v18
	v_fmamk_f32 v9, v64, 0xbe8c1d8e, v30
	v_mul_f32_e32 v27, 0xbf763a35, v115
	v_mul_f32_e32 v143, 0x3f6eb680, v108
	s_delay_alu instid0(VALU_DEP_4) | instskip(NEXT) | instid1(VALU_DEP_4)
	v_dual_fmamk_f32 v14, v56, 0x3dbcf732, v20 :: v_dual_add_f32 v15, v17, v15
	v_dual_add_f32 v8, v9, v8 :: v_dual_fmamk_f32 v9, v66, 0x3dbcf732, v31
	v_mul_f32_e32 v135, 0xbf65296c, v95
	v_mul_f32_e32 v156, 0x3f763a35, v85
	;; [unrolled: 1-line block ×4, first 2 shown]
	v_add_f32_e32 v0, v9, v8
	v_add_f32_e32 v8, v12, v15
	v_fmamk_f32 v12, v60, 0x3f6eb680, v22
	v_fmamk_f32 v18, v53, 0x3ee437d1, v26
	v_add_f32_e32 v9, v13, v45
	v_fmamk_f32 v17, v65, 0x3e3c28d5, v163
	v_mul_f32_e32 v164, 0xbe3c28d5, v103
	s_delay_alu instid0(VALU_DEP_4)
	v_dual_mul_f32 v134, 0x3eb8f4ab, v90 :: v_dual_add_f32 v11, v18, v16
	v_mul_f32_e32 v141, 0xbf7ba420, v96
	v_mul_f32_e32 v166, 0xbf763a35, v83
	;; [unrolled: 1-line block ×3, first 2 shown]
	v_dual_mul_f32 v148, 0x3f2c7751, v88 :: v_dual_mul_f32 v145, 0x3f2c7751, v115
	v_add_f32_e32 v11, v14, v11
	v_fmamk_f32 v14, v58, 0xbf1a4643, v21
	v_mul_f32_e32 v159, 0xbf59a7d5, v94
	v_mul_f32_e32 v139, 0x3f3d2fb0, v89
	;; [unrolled: 1-line block ×3, first 2 shown]
	v_fmamk_f32 v15, v54, 0xbf763a35, v154
	v_dual_add_f32 v11, v14, v11 :: v_dual_fmamk_f32 v14, v63, 0x3e3c28d5, v32
	v_mul_f32_e32 v144, 0xbf1a4643, v117
	v_mul_f32_e32 v132, 0xbe3c28d5, v85
	;; [unrolled: 1-line block ×3, first 2 shown]
	s_delay_alu instid0(VALU_DEP_4) | instskip(SKIP_2) | instid1(VALU_DEP_3)
	v_dual_add_f32 v11, v12, v11 :: v_dual_fmamk_f32 v12, v62, 0xbf7ba420, v23
	v_dual_add_f32 v13, v14, v8 :: v_dual_fmamk_f32 v14, v65, 0xbf2c7751, v37
	v_add_f32_e32 v8, v10, v44
	v_dual_mul_f32 v44, 0x3ee437d1, v117 :: v_dual_add_f32 v11, v12, v11
	v_fmamk_f32 v12, v64, 0x3f3d2fb0, v24
	s_delay_alu instid0(VALU_DEP_4) | instskip(SKIP_2) | instid1(VALU_DEP_4)
	v_dual_add_f32 v10, v14, v13 :: v_dual_fmamk_f32 v13, v67, 0x3f763a35, v28
	v_mul_f32_e32 v167, 0x3f06c442, v85
	v_mul_f32_e32 v176, 0xbe8c1d8e, v89
	v_add_f32_e32 v12, v12, v11
	s_delay_alu instid0(VALU_DEP_4)
	v_dual_mul_f32 v150, 0xbe3c28d5, v95 :: v_dual_add_f32 v11, v13, v10
	v_fmamk_f32 v10, v55, 0x3f4c4adb, v153
	v_fmamk_f32 v13, v66, 0xbe8c1d8e, v27
	v_mul_f32_e32 v147, 0xbf06c442, v90
	v_fmamk_f32 v18, v53, 0xbf59a7d5, v167
	v_mul_f32_e32 v168, 0xbf7ee86f, v83
	v_add_f32_e32 v10, v7, v10
	v_mul_f32_e32 v174, 0xbf7ba420, v86
	v_mul_f32_e32 v178, 0x3ee437d1, v96
	;; [unrolled: 1-line block ×3, first 2 shown]
	v_fmac_f32_e32 v36, 0x3f65296c, v54
	v_dual_add_f32 v10, v15, v10 :: v_dual_fmamk_f32 v15, v57, 0x3eb8f4ab, v158
	v_fmac_f32_e32 v128, 0x3f4c4adb, v59
	v_fmac_f32_e32 v118, 0x3f65296c, v63
	;; [unrolled: 1-line block ×3, first 2 shown]
	v_fma_f32 v31, 0x3dbcf732, v66, -v31
	v_add_f32_e32 v10, v15, v10
	v_fmamk_f32 v15, v59, 0x3f06c442, v159
	v_fmac_f32_e32 v32, 0xbe3c28d5, v63
	v_mul_f32_e32 v133, 0x3f763a35, v88
	v_fmamk_f32 v16, v53, 0xbe8c1d8e, v156
	v_fma_f32 v26, 0x3ee437d1, v53, -v26
	v_dual_add_f32 v10, v15, v10 :: v_dual_fmamk_f32 v15, v61, 0xbf7ee86f, v155
	v_mul_f32_e32 v149, 0xbf65296c, v90
	v_fmac_f32_e32 v120, 0x3f2c7751, v59
	v_fma_f32 v34, 0x3ee437d1, v62, -v34
	v_fma_f32 v30, 0xbe8c1d8e, v64, -v30
	v_add_f32_e32 v10, v15, v10
	v_fmamk_f32 v15, v63, 0x3f2c7751, v160
	v_mul_f32_e32 v165, 0xbf4c4adb, v115
	v_fma_f32 v20, 0x3dbcf732, v56, -v20
	v_fma_f32 v21, 0xbf1a4643, v58, -v21
	;; [unrolled: 1-line block ×3, first 2 shown]
	v_dual_add_f32 v15, v15, v10 :: v_dual_add_f32 v10, v13, v12
	v_fmamk_f32 v13, v67, 0xbf65296c, v44
	v_mul_f32_e32 v45, 0x3f65296c, v115
	v_fmac_f32_e32 v28, 0xbf763a35, v67
	s_delay_alu instid0(VALU_DEP_4)
	v_add_f32_e32 v12, v17, v15
	v_mul_f32_e32 v146, 0xbf4c4adb, v83
	v_fmamk_f32 v17, v54, 0xbf06c442, v138
	v_fmamk_f32 v15, v66, 0x3ee437d1, v45
	v_mul_f32_e32 v177, 0x3f6eb680, v94
	v_dual_add_f32 v13, v13, v12 :: v_dual_fmamk_f32 v12, v55, 0x3f763a35, v131
	v_fmamk_f32 v14, v52, 0xbf1a4643, v146
	v_mul_f32_e32 v179, 0xbf59a7d5, v99
	v_mul_f32_e32 v169, 0x3dbcf732, v87
	s_delay_alu instid0(VALU_DEP_4) | instskip(NEXT) | instid1(VALU_DEP_4)
	v_dual_mul_f32 v87, 0x3ee437d1, v87 :: v_dual_add_f32 v12, v7, v12
	v_dual_add_f32 v14, v6, v14 :: v_dual_mul_f32 v129, 0x3f3d2fb0, v117
	v_mul_f32_e32 v151, 0x3f7ee86f, v97
	s_delay_alu instid0(VALU_DEP_3) | instskip(NEXT) | instid1(VALU_DEP_3)
	v_dual_mul_f32 v137, 0x3f4c4adb, v103 :: v_dual_add_f32 v12, v17, v12
	v_add_f32_e32 v14, v16, v14
	v_fmamk_f32 v16, v56, 0x3f6eb680, v161
	v_fmamk_f32 v17, v57, 0xbf2c7751, v139
	v_fmamk_f32 v19, v63, 0xbf7ee86f, v142
	v_mul_f32_e32 v85, 0xbf7ba420, v89
	s_delay_alu instid0(VALU_DEP_4) | instskip(SKIP_3) | instid1(VALU_DEP_3)
	v_dual_fmamk_f32 v89, v53, 0xbf1a4643, v172 :: v_dual_add_f32 v14, v16, v14
	v_fmamk_f32 v16, v58, 0xbf59a7d5, v147
	v_dual_add_f32 v12, v17, v12 :: v_dual_fmamk_f32 v17, v59, 0x3f65296c, v140
	v_fmac_f32_e32 v140, 0xbf65296c, v59
	v_dual_mul_f32 v171, 0xbf65296c, v83 :: v_dual_add_f32 v14, v16, v14
	v_fmamk_f32 v16, v60, 0x3dbcf732, v157
	s_delay_alu instid0(VALU_DEP_4) | instskip(SKIP_4) | instid1(VALU_DEP_4)
	v_add_f32_e32 v12, v17, v12
	v_fmamk_f32 v17, v61, 0x3e3c28d5, v141
	v_mul_f32_e32 v83, 0xbf1a4643, v86
	v_mul_f32_e32 v175, 0x3f763a35, v90
	v_add_f32_e32 v14, v16, v14
	v_dual_fmamk_f32 v16, v62, 0x3f3d2fb0, v162 :: v_dual_add_f32 v17, v17, v12
	s_delay_alu instid0(VALU_DEP_4) | instskip(SKIP_2) | instid1(VALU_DEP_4)
	v_fmamk_f32 v86, v54, 0x3f4c4adb, v83
	v_mul_f32_e32 v173, 0x3e3c28d5, v88
	v_fmamk_f32 v88, v57, 0xbe3c28d5, v85
	v_add_f32_e32 v14, v16, v14
	v_fmamk_f32 v16, v64, 0xbf7ba420, v164
	v_mul_f32_e32 v95, 0x3f2c7751, v95
	v_fmac_f32_e32 v93, 0xbe3c28d5, v55
	v_fmac_f32_e32 v91, 0x3eb8f4ab, v54
	v_mul_f32_e32 v180, 0xbf7ee86f, v54
	v_add_f32_e32 v14, v16, v14
	v_fmamk_f32 v16, v52, 0xbe8c1d8e, v166
	v_fmac_f32_e32 v121, 0xbf763a35, v65
	v_fmac_f32_e32 v35, 0xbf06c442, v55
	s_delay_alu instid0(VALU_DEP_4) | instskip(NEXT) | instid1(VALU_DEP_4)
	v_dual_fmac_f32 v33, 0xbf7ee86f, v57 :: v_dual_add_f32 v12, v15, v14
	v_dual_add_f32 v16, v6, v16 :: v_dual_fmamk_f32 v15, v65, 0x3eb8f4ab, v143
	v_dual_add_f32 v14, v19, v17 :: v_dual_fmamk_f32 v19, v53, 0xbf7ba420, v132
	s_delay_alu instid0(VALU_DEP_2) | instskip(SKIP_1) | instid1(VALU_DEP_3)
	v_dual_fmamk_f32 v17, v64, 0x3f6eb680, v152 :: v_dual_add_f32 v16, v18, v16
	v_fmamk_f32 v18, v56, 0x3f3d2fb0, v148
	v_add_f32_e32 v14, v15, v14
	v_fmamk_f32 v15, v67, 0x3f4c4adb, v144
	v_fmac_f32_e32 v158, 0xbeb8f4ab, v57
	v_fmac_f32_e32 v144, 0xbf4c4adb, v67
	v_add_f32_e32 v16, v18, v16
	s_delay_alu instid0(VALU_DEP_4) | instskip(SKIP_2) | instid1(VALU_DEP_3)
	v_dual_fmamk_f32 v18, v58, 0x3ee437d1, v149 :: v_dual_add_f32 v15, v15, v14
	v_add_f32_e32 v35, v7, v35
	v_fmac_f32_e32 v119, 0xbf4c4adb, v61
	v_dual_fmac_f32 v37, 0x3f2c7751, v65 :: v_dual_add_f32 v16, v18, v16
	v_fmamk_f32 v18, v60, 0xbf7ba420, v150
	s_delay_alu instid0(VALU_DEP_4) | instskip(SKIP_2) | instid1(VALU_DEP_4)
	v_add_f32_e32 v35, v36, v35
	v_fmac_f32_e32 v25, 0x3f7ee86f, v67
	v_fmac_f32_e32 v153, 0xbf4c4adb, v55
	v_dual_fmac_f32 v159, 0xbf06c442, v59 :: v_dual_add_f32 v16, v18, v16
	s_delay_alu instid0(VALU_DEP_4) | instskip(SKIP_2) | instid1(VALU_DEP_3)
	v_dual_fmamk_f32 v18, v62, 0x3dbcf732, v151 :: v_dual_add_f32 v33, v33, v35
	v_fmac_f32_e32 v163, 0xbe3c28d5, v65
	v_fmac_f32_e32 v131, 0xbf763a35, v55
	v_dual_fmac_f32 v139, 0x3f2c7751, v57 :: v_dual_add_f32 v16, v18, v16
	s_delay_alu instid0(VALU_DEP_4) | instskip(SKIP_1) | instid1(VALU_DEP_3)
	v_dual_fmamk_f32 v18, v55, 0x3f7ee86f, v169 :: v_dual_add_f32 v33, v128, v33
	v_fmac_f32_e32 v141, 0xbe3c28d5, v61
	v_dual_fmac_f32 v143, 0xbeb8f4ab, v65 :: v_dual_add_f32 v16, v17, v16
	v_fmamk_f32 v17, v66, 0xbf1a4643, v165
	s_delay_alu instid0(VALU_DEP_4) | instskip(SKIP_2) | instid1(VALU_DEP_4)
	v_add_f32_e32 v33, v130, v33
	v_fmac_f32_e32 v83, 0xbf4c4adb, v54
	v_fmac_f32_e32 v85, 0x3e3c28d5, v57
	v_dual_fmac_f32 v155, 0x3f7ee86f, v61 :: v_dual_add_f32 v14, v17, v16
	v_dual_add_f32 v17, v7, v18 :: v_dual_fmamk_f32 v18, v54, 0x3e3c28d5, v174
	v_fmamk_f32 v16, v52, 0x3dbcf732, v168
	v_fmac_f32_e32 v169, 0xbf7ee86f, v55
	s_delay_alu instid0(VALU_DEP_3) | instskip(NEXT) | instid1(VALU_DEP_3)
	v_dual_add_f32 v17, v18, v17 :: v_dual_fmamk_f32 v18, v57, 0xbf763a35, v176
	v_add_f32_e32 v16, v6, v16
	s_delay_alu instid0(VALU_DEP_2) | instskip(SKIP_1) | instid1(VALU_DEP_3)
	v_dual_fmac_f32 v154, 0x3f763a35, v54 :: v_dual_add_f32 v17, v18, v17
	v_fmamk_f32 v18, v59, 0xbeb8f4ab, v177
	v_dual_add_f32 v16, v19, v16 :: v_dual_fmamk_f32 v19, v56, 0xbe8c1d8e, v133
	v_fmac_f32_e32 v160, 0xbf2c7751, v63
	v_fmac_f32_e32 v177, 0x3eb8f4ab, v59
	s_delay_alu instid0(VALU_DEP_4) | instskip(NEXT) | instid1(VALU_DEP_1)
	v_dual_add_f32 v17, v18, v17 :: v_dual_fmamk_f32 v18, v61, 0x3f65296c, v178
	v_dual_add_f32 v17, v18, v17 :: v_dual_fmamk_f32 v18, v63, 0x3f06c442, v179
	v_fmac_f32_e32 v179, 0xbf06c442, v63
	s_delay_alu instid0(VALU_DEP_2) | instskip(NEXT) | instid1(VALU_DEP_1)
	v_dual_add_f32 v17, v18, v17 :: v_dual_fmamk_f32 v18, v65, 0xbf4c4adb, v170
	v_dual_add_f32 v17, v18, v17 :: v_dual_fmamk_f32 v18, v67, 0xbf2c7751, v129
	v_fmac_f32_e32 v129, 0x3f2c7751, v67
	s_delay_alu instid0(VALU_DEP_2) | instskip(NEXT) | instid1(VALU_DEP_1)
	v_dual_add_f32 v17, v18, v17 :: v_dual_fmamk_f32 v18, v55, 0x3f65296c, v87
	v_dual_fmac_f32 v87, 0xbf65296c, v55 :: v_dual_add_f32 v18, v7, v18
	s_delay_alu instid0(VALU_DEP_1) | instskip(SKIP_2) | instid1(VALU_DEP_3)
	v_add_f32_e32 v18, v86, v18
	v_mul_f32_e32 v86, 0xbe8c1d8e, v94
	v_fmamk_f32 v94, v58, 0xbe8c1d8e, v175
	v_add_f32_e32 v18, v88, v18
	s_delay_alu instid0(VALU_DEP_3) | instskip(SKIP_2) | instid1(VALU_DEP_3)
	v_fmamk_f32 v90, v59, 0xbf763a35, v86
	v_mul_f32_e32 v88, 0x3f3d2fb0, v96
	v_mul_f32_e32 v96, 0xbeb8f4ab, v97
	v_dual_mul_f32 v97, 0xbf7ee86f, v103 :: v_dual_add_f32 v18, v90, v18
	s_delay_alu instid0(VALU_DEP_3) | instskip(NEXT) | instid1(VALU_DEP_2)
	v_fmamk_f32 v90, v61, 0xbf2c7751, v88
	v_fmamk_f32 v103, v64, 0x3dbcf732, v97
	v_fmac_f32_e32 v142, 0x3f7ee86f, v63
	s_delay_alu instid0(VALU_DEP_3) | instskip(SKIP_3) | instid1(VALU_DEP_2)
	v_add_f32_e32 v18, v90, v18
	v_mul_f32_e32 v90, 0x3dbcf732, v108
	v_dual_add_f32 v16, v19, v16 :: v_dual_fmamk_f32 v19, v58, 0x3f6eb680, v134
	v_fmamk_f32 v108, v62, 0x3f6eb680, v96
	v_dual_add_f32 v16, v19, v16 :: v_dual_fmamk_f32 v19, v60, 0x3ee437d1, v135
	v_fmac_f32_e32 v44, 0x3f65296c, v67
	s_delay_alu instid0(VALU_DEP_2) | instskip(SKIP_1) | instid1(VALU_DEP_2)
	v_dual_add_f32 v16, v19, v16 :: v_dual_fmamk_f32 v19, v62, 0xbf59a7d5, v136
	v_fmac_f32_e32 v138, 0x3f06c442, v54
	v_dual_add_f32 v16, v19, v16 :: v_dual_fmamk_f32 v19, v64, 0xbf1a4643, v137
	s_delay_alu instid0(VALU_DEP_1) | instskip(NEXT) | instid1(VALU_DEP_1)
	v_dual_add_f32 v16, v19, v16 :: v_dual_fmamk_f32 v19, v66, 0x3f3d2fb0, v145
	v_dual_add_f32 v16, v19, v16 :: v_dual_fmamk_f32 v19, v52, 0x3ee437d1, v171
	s_delay_alu instid0(VALU_DEP_1) | instskip(NEXT) | instid1(VALU_DEP_1)
	v_add_f32_e32 v19, v6, v19
	v_add_f32_e32 v19, v89, v19
	v_fmamk_f32 v89, v56, 0xbf7ba420, v173
	s_delay_alu instid0(VALU_DEP_1) | instskip(SKIP_1) | instid1(VALU_DEP_2)
	v_add_f32_e32 v19, v89, v19
	v_mul_f32_e32 v89, 0x3f6eb680, v99
	v_add_f32_e32 v19, v94, v19
	s_delay_alu instid0(VALU_DEP_2) | instskip(SKIP_1) | instid1(VALU_DEP_2)
	v_fmamk_f32 v99, v63, 0x3eb8f4ab, v89
	v_fmamk_f32 v94, v60, 0x3f3d2fb0, v95
	v_dual_fmac_f32 v89, 0xbeb8f4ab, v63 :: v_dual_add_f32 v18, v99, v18
	v_fmamk_f32 v99, v65, 0x3f7ee86f, v90
	s_delay_alu instid0(VALU_DEP_3) | instskip(NEXT) | instid1(VALU_DEP_1)
	v_dual_add_f32 v19, v94, v19 :: v_dual_mul_f32 v94, 0xbf59a7d5, v117
	v_dual_add_f32 v18, v99, v18 :: v_dual_add_f32 v19, v108, v19
	v_mul_f32_e32 v108, 0xbf2c7751, v55
	s_delay_alu instid0(VALU_DEP_3) | instskip(SKIP_2) | instid1(VALU_DEP_4)
	v_fmamk_f32 v117, v67, 0x3f06c442, v94
	v_mul_f32_e32 v99, 0xbf06c442, v115
	v_mul_f32_e32 v115, 0xbf4c4adb, v57
	v_dual_add_f32 v103, v103, v19 :: v_dual_sub_f32 v108, v114, v108
	s_delay_alu instid0(VALU_DEP_4) | instskip(SKIP_2) | instid1(VALU_DEP_4)
	v_dual_add_f32 v19, v117, v18 :: v_dual_sub_f32 v18, v116, v180
	v_mul_f32_e32 v114, 0x3f3d2fb0, v52
	v_fmamk_f32 v116, v66, 0xbf59a7d5, v99
	v_dual_add_f32 v108, v7, v108 :: v_dual_mul_f32 v117, 0x3dbcf732, v53
	v_fmac_f32_e32 v174, 0xbe3c28d5, v54
	s_delay_alu instid0(VALU_DEP_4) | instskip(SKIP_1) | instid1(VALU_DEP_4)
	v_add_f32_e32 v100, v114, v100
	v_mul_f32_e32 v114, 0xbf1a4643, v56
	v_add_f32_e32 v18, v18, v108
	v_sub_f32_e32 v108, v110, v115
	v_mul_f32_e32 v110, 0xbe3c28d5, v59
	v_add_f32_e32 v104, v117, v104
	v_add_f32_e32 v100, v6, v100
	s_delay_alu instid0(VALU_DEP_4) | instskip(NEXT) | instid1(VALU_DEP_4)
	v_add_f32_e32 v18, v108, v18
	v_sub_f32_e32 v108, v111, v110
	v_mul_f32_e32 v110, 0x3f06c442, v61
	s_delay_alu instid0(VALU_DEP_4) | instskip(SKIP_1) | instid1(VALU_DEP_4)
	v_add_f32_e32 v100, v104, v100
	v_dual_add_f32 v104, v114, v105 :: v_dual_mul_f32 v105, 0xbf7ba420, v58
	v_add_f32_e32 v108, v108, v18
	s_delay_alu instid0(VALU_DEP_4) | instskip(NEXT) | instid1(VALU_DEP_3)
	v_dual_sub_f32 v110, v112, v110 :: v_dual_mul_f32 v111, 0x3f763a35, v63
	v_add_f32_e32 v100, v104, v100
	s_delay_alu instid0(VALU_DEP_4) | instskip(SKIP_1) | instid1(VALU_DEP_4)
	v_add_f32_e32 v104, v105, v106
	v_dual_add_f32 v18, v116, v103 :: v_dual_mul_f32 v103, 0xbf59a7d5, v60
	v_dual_add_f32 v105, v110, v108 :: v_dual_sub_f32 v106, v113, v111
	s_delay_alu instid0(VALU_DEP_2) | instskip(SKIP_1) | instid1(VALU_DEP_3)
	v_dual_add_f32 v100, v104, v100 :: v_dual_add_f32 v103, v103, v107
	v_mul_f32_e32 v107, 0xbe8c1d8e, v62
	v_dual_add_f32 v105, v106, v105 :: v_dual_mul_f32 v106, 0xbeb8f4ab, v55
	v_fmac_f32_e32 v176, 0x3f763a35, v57
	s_delay_alu instid0(VALU_DEP_4) | instskip(NEXT) | instid1(VALU_DEP_4)
	v_add_f32_e32 v100, v103, v100
	v_add_f32_e32 v101, v107, v101
	v_mul_f32_e32 v103, 0xbf2c7751, v54
	v_sub_f32_e32 v70, v70, v106
	v_mul_f32_e32 v106, 0x3ee437d1, v64
	s_delay_alu instid0(VALU_DEP_3) | instskip(NEXT) | instid1(VALU_DEP_3)
	v_dual_add_f32 v100, v101, v100 :: v_dual_sub_f32 v75, v75, v103
	v_add_f32_e32 v70, v7, v70
	s_delay_alu instid0(VALU_DEP_3) | instskip(SKIP_2) | instid1(VALU_DEP_4)
	v_dual_add_f32 v101, v106, v102 :: v_dual_mul_f32 v102, 0x3f6eb680, v52
	v_mul_f32_e32 v103, 0xbf65296c, v57
	v_fmac_f32_e32 v178, 0xbf65296c, v61
	v_dual_add_f32 v70, v75, v70 :: v_dual_mul_f32 v75, 0x3f3d2fb0, v53
	s_delay_alu instid0(VALU_DEP_3) | instskip(SKIP_2) | instid1(VALU_DEP_3)
	v_dual_add_f32 v68, v102, v68 :: v_dual_sub_f32 v73, v73, v103
	v_mul_f32_e32 v102, 0xbf7ee86f, v59
	v_fmac_f32_e32 v88, 0x3f2c7751, v61
	v_dual_add_f32 v69, v75, v69 :: v_dual_add_f32 v68, v6, v68
	v_add_f32_e32 v75, v101, v100
	v_mul_f32_e32 v100, 0x3ee437d1, v56
	v_add_f32_e32 v70, v73, v70
	s_delay_alu instid0(VALU_DEP_4) | instskip(SKIP_1) | instid1(VALU_DEP_4)
	v_dual_sub_f32 v73, v78, v102 :: v_dual_add_f32 v68, v69, v68
	v_mul_f32_e32 v69, 0xbf763a35, v61
	v_dual_add_f32 v71, v100, v71 :: v_dual_mul_f32 v100, 0x3dbcf732, v58
	s_delay_alu instid0(VALU_DEP_3) | instskip(NEXT) | instid1(VALU_DEP_2)
	v_dual_add_f32 v70, v73, v70 :: v_dual_mul_f32 v73, 0xbe8c1d8e, v60
	v_dual_sub_f32 v69, v76, v69 :: v_dual_add_f32 v68, v71, v68
	s_delay_alu instid0(VALU_DEP_3) | instskip(SKIP_1) | instid1(VALU_DEP_3)
	v_dual_mul_f32 v71, 0xbf4c4adb, v63 :: v_dual_add_f32 v72, v100, v72
	v_mul_f32_e32 v78, 0x3f6eb680, v66
	v_add_f32_e32 v70, v69, v70
	s_delay_alu instid0(VALU_DEP_3) | instskip(NEXT) | instid1(VALU_DEP_4)
	v_dual_fmac_f32 v170, 0x3f4c4adb, v65 :: v_dual_sub_f32 v71, v81, v71
	v_add_f32_e32 v68, v72, v68
	v_add_f32_e32 v72, v73, v74
	v_dual_mul_f32 v73, 0xbf1a4643, v62 :: v_dual_add_f32 v76, v78, v92
	v_mul_f32_e32 v74, 0xbf06c442, v65
	s_delay_alu instid0(VALU_DEP_3) | instskip(NEXT) | instid1(VALU_DEP_3)
	v_dual_add_f32 v70, v71, v70 :: v_dual_add_f32 v71, v72, v68
	v_dual_add_f32 v72, v73, v77 :: v_dual_mul_f32 v73, 0xbf59a7d5, v64
	s_delay_alu instid0(VALU_DEP_3) | instskip(SKIP_2) | instid1(VALU_DEP_4)
	v_sub_f32_e32 v74, v80, v74
	v_add_f32_e32 v68, v76, v75
	v_mul_f32_e32 v75, 0xbe3c28d5, v67
	v_add_f32_e32 v71, v72, v71
	v_add_f32_e32 v72, v73, v79
	;; [unrolled: 1-line block ×3, first 2 shown]
	v_fma_f32 v74, 0xbf7ba420, v52, -v124
	v_sub_f32_e32 v73, v84, v75
	s_delay_alu instid0(VALU_DEP_4) | instskip(SKIP_1) | instid1(VALU_DEP_4)
	v_dual_add_f32 v75, v7, v93 :: v_dual_add_f32 v72, v72, v71
	v_mul_f32_e32 v71, 0xbf7ba420, v66
	v_add_f32_e32 v74, v6, v74
	v_fma_f32 v76, 0x3f6eb680, v53, -v123
	v_fmac_f32_e32 v86, 0x3f763a35, v59
	s_delay_alu instid0(VALU_DEP_4) | instskip(SKIP_1) | instid1(VALU_DEP_4)
	v_dual_fmac_f32 v122, 0xbf06c442, v57 :: v_dual_add_f32 v77, v71, v82
	v_add_f32_e32 v71, v73, v70
	v_dual_add_f32 v73, v91, v75 :: v_dual_add_f32 v74, v76, v74
	v_fma_f32 v75, 0xbf59a7d5, v56, -v125
	s_delay_alu instid0(VALU_DEP_4) | instskip(SKIP_1) | instid1(VALU_DEP_4)
	v_add_f32_e32 v70, v77, v72
	v_fmac_f32_e32 v90, 0xbf7ee86f, v65
	v_add_f32_e32 v72, v122, v73
	s_delay_alu instid0(VALU_DEP_4) | instskip(SKIP_1) | instid1(VALU_DEP_1)
	v_dual_fmac_f32 v94, 0xbf06c442, v67 :: v_dual_add_f32 v73, v75, v74
	v_fma_f32 v74, 0x3f3d2fb0, v58, -v126
	v_dual_add_f32 v72, v120, v72 :: v_dual_add_f32 v73, v74, v73
	v_fma_f32 v74, 0xbf1a4643, v60, -v127
	s_delay_alu instid0(VALU_DEP_2) | instskip(NEXT) | instid1(VALU_DEP_2)
	v_add_f32_e32 v36, v119, v72
	v_add_f32_e32 v72, v74, v73
	s_delay_alu instid0(VALU_DEP_2) | instskip(NEXT) | instid1(VALU_DEP_1)
	v_add_f32_e32 v35, v118, v36
	v_dual_add_f32 v34, v34, v72 :: v_dual_add_f32 v35, v121, v35
	s_delay_alu instid0(VALU_DEP_1) | instskip(NEXT) | instid1(VALU_DEP_2)
	v_add_f32_e32 v34, v30, v34
	v_add_f32_e32 v30, v25, v35
	v_fma_f32 v25, 0xbf59a7d5, v52, -v29
	s_delay_alu instid0(VALU_DEP_3) | instskip(SKIP_1) | instid1(VALU_DEP_3)
	v_add_f32_e32 v29, v31, v34
	v_add_f32_e32 v31, v32, v33
	;; [unrolled: 1-line block ×4, first 2 shown]
	v_fma_f32 v33, 0xbf1a4643, v52, -v146
	v_mad_u32_u24 v34, 0x88, v40, 0
	v_add_f32_e32 v31, v37, v31
	v_add_f32_e32 v25, v26, v25
	;; [unrolled: 1-line block ×3, first 2 shown]
	v_mul_f32_e32 v104, 0x3f65296c, v65
	v_add_f32_e32 v32, v6, v33
	v_fma_f32 v33, 0xbe8c1d8e, v53, -v156
	s_delay_alu instid0(VALU_DEP_4) | instskip(NEXT) | instid1(VALU_DEP_2)
	v_dual_add_f32 v20, v20, v25 :: v_dual_add_f32 v25, v158, v26
	v_add_f32_e32 v26, v33, v32
	s_delay_alu instid0(VALU_DEP_2) | instskip(SKIP_2) | instid1(VALU_DEP_3)
	v_dual_add_f32 v20, v21, v20 :: v_dual_add_f32 v21, v28, v31
	v_sub_f32_e32 v104, v109, v104
	v_fma_f32 v32, 0x3f6eb680, v56, -v161
	v_dual_add_f32 v25, v159, v25 :: v_dual_add_f32 v20, v22, v20
	v_fma_f32 v22, 0xbf7ba420, v62, -v23
	v_fma_f32 v28, 0xbf59a7d5, v58, -v147
	s_delay_alu instid0(VALU_DEP_3) | instskip(SKIP_1) | instid1(VALU_DEP_4)
	v_dual_add_f32 v26, v32, v26 :: v_dual_add_f32 v23, v155, v25
	v_fma_f32 v31, 0xbf1a4643, v66, -v165
	v_add_f32_e32 v20, v22, v20
	v_fma_f32 v22, 0x3f3d2fb0, v64, -v24
	s_delay_alu instid0(VALU_DEP_4)
	v_add_f32_e32 v25, v28, v26
	v_fma_f32 v26, 0x3dbcf732, v60, -v157
	v_add_f32_e32 v23, v160, v23
	v_add_f32_e32 v104, v104, v105
	;; [unrolled: 1-line block ×3, first 2 shown]
	v_fma_f32 v22, 0xbe8c1d8e, v66, -v27
	v_mul_f32_e32 v105, 0x3eb8f4ab, v67
	v_dual_add_f32 v23, v163, v23 :: v_dual_add_f32 v24, v26, v25
	v_fma_f32 v26, 0xbf59a7d5, v53, -v167
	s_delay_alu instid0(VALU_DEP_4)
	v_add_f32_e32 v20, v22, v20
	v_fma_f32 v22, 0xbe8c1d8e, v52, -v166
	v_sub_f32_e32 v98, v98, v105
	v_add_f32_e32 v28, v7, v169
	v_fma_f32 v25, 0x3f3d2fb0, v62, -v162
	v_fma_f32 v27, 0x3ee437d1, v66, -v45
	v_add_f32_e32 v22, v6, v22
	v_fma_f32 v33, 0xbf59a7d5, v66, -v99
	v_add_f32_e32 v28, v174, v28
	v_add_f32_e32 v24, v25, v24
	v_fma_f32 v25, 0xbf7ba420, v64, -v164
	v_add_f32_e32 v22, v26, v22
	v_fma_f32 v26, 0x3f3d2fb0, v56, -v148
	v_add_f32_e32 v28, v176, v28
	v_add_f32_e32 v69, v98, v104
	v_dual_add_f32 v24, v25, v24 :: v_dual_add_f32 v25, v7, v131
	s_delay_alu instid0(VALU_DEP_4) | instskip(SKIP_2) | instid1(VALU_DEP_4)
	v_add_f32_e32 v22, v26, v22
	v_fma_f32 v26, 0x3ee437d1, v58, -v149
	v_dual_add_f32 v28, v177, v28 :: v_dual_add_f32 v7, v7, v87
	v_add_f32_e32 v25, v138, v25
	s_delay_alu instid0(VALU_DEP_3) | instskip(SKIP_1) | instid1(VALU_DEP_4)
	v_dual_add_f32 v23, v44, v23 :: v_dual_add_f32 v22, v26, v22
	v_fma_f32 v26, 0xbf7ba420, v60, -v150
	v_dual_add_f32 v28, v178, v28 :: v_dual_add_f32 v7, v83, v7
	s_delay_alu instid0(VALU_DEP_2) | instskip(SKIP_1) | instid1(VALU_DEP_3)
	v_dual_add_f32 v25, v139, v25 :: v_dual_add_f32 v22, v26, v22
	v_fma_f32 v26, 0x3dbcf732, v62, -v151
	v_dual_add_f32 v28, v179, v28 :: v_dual_add_f32 v7, v85, v7
	s_delay_alu instid0(VALU_DEP_2) | instskip(SKIP_1) | instid1(VALU_DEP_3)
	v_dual_add_f32 v25, v140, v25 :: v_dual_add_f32 v22, v26, v22
	v_fma_f32 v26, 0x3f6eb680, v64, -v152
	v_add_f32_e32 v7, v86, v7
	s_delay_alu instid0(VALU_DEP_2) | instskip(SKIP_3) | instid1(VALU_DEP_4)
	v_dual_add_f32 v25, v141, v25 :: v_dual_add_f32 v26, v26, v22
	v_add_f32_e32 v22, v27, v24
	v_add_f32_e32 v27, v170, v28
	v_fma_f32 v28, 0x3ee437d1, v52, -v171
	v_dual_add_f32 v7, v88, v7 :: v_dual_add_f32 v24, v31, v26
	v_fma_f32 v26, 0x3dbcf732, v52, -v168
	v_fma_f32 v31, 0xbf7ba420, v53, -v132
	v_add_f32_e32 v25, v142, v25
	s_delay_alu instid0(VALU_DEP_3) | instskip(SKIP_2) | instid1(VALU_DEP_3)
	v_dual_add_f32 v7, v89, v7 :: v_dual_add_f32 v26, v6, v26
	v_add_f32_e32 v6, v6, v28
	v_fma_f32 v28, 0xbf1a4643, v53, -v172
	v_dual_add_f32 v25, v143, v25 :: v_dual_add_f32 v32, v90, v7
	s_delay_alu instid0(VALU_DEP_4) | instskip(SKIP_1) | instid1(VALU_DEP_4)
	v_add_f32_e32 v26, v31, v26
	v_fma_f32 v31, 0xbe8c1d8e, v56, -v133
	v_add_f32_e32 v6, v28, v6
	v_fma_f32 v28, 0xbf7ba420, v56, -v173
	v_add_f32_e32 v25, v144, v25
	s_delay_alu instid0(VALU_DEP_4) | instskip(SKIP_1) | instid1(VALU_DEP_4)
	v_dual_add_f32 v7, v129, v27 :: v_dual_add_f32 v26, v31, v26
	v_fma_f32 v31, 0x3f6eb680, v58, -v134
	v_add_f32_e32 v6, v28, v6
	v_fma_f32 v28, 0xbe8c1d8e, v58, -v175
	s_delay_alu instid0(VALU_DEP_3) | instskip(SKIP_1) | instid1(VALU_DEP_3)
	v_dual_add_f32 v27, v94, v32 :: v_dual_add_f32 v26, v31, v26
	v_fma_f32 v31, 0x3ee437d1, v60, -v135
	v_add_f32_e32 v6, v28, v6
	v_fma_f32 v28, 0x3f3d2fb0, v60, -v95
	s_delay_alu instid0(VALU_DEP_3) | instskip(SKIP_1) | instid1(VALU_DEP_3)
	v_add_f32_e32 v26, v31, v26
	v_fma_f32 v31, 0xbf59a7d5, v62, -v136
	v_add_f32_e32 v6, v28, v6
	v_fma_f32 v28, 0x3f6eb680, v62, -v96
	s_delay_alu instid0(VALU_DEP_3) | instskip(SKIP_1) | instid1(VALU_DEP_3)
	v_add_f32_e32 v26, v31, v26
	;; [unrolled: 5-line block ×3, first 2 shown]
	v_fma_f32 v31, 0x3f3d2fb0, v66, -v145
	v_add_f32_e32 v28, v28, v6
	s_delay_alu instid0(VALU_DEP_2) | instskip(NEXT) | instid1(VALU_DEP_2)
	v_add_f32_e32 v6, v31, v26
	v_add_f32_e32 v26, v33, v28
	ds_store_2addr_b64 v34, v[8:9], v[70:71] offset1:1
	ds_store_2addr_b64 v34, v[68:69], v[18:19] offset0:2 offset1:3
	ds_store_2addr_b64 v34, v[16:17], v[14:15] offset0:4 offset1:5
	;; [unrolled: 1-line block ×7, first 2 shown]
	ds_store_b64 v34, v[4:5] offset:128
.LBB0_23:
	s_wait_alu 0xfffe
	s_or_b32 exec_lo, exec_lo, s4
	v_and_b32_e32 v0, 0xff, v40
	v_add_nc_u32_e32 v6, 0x198, v40
	global_wb scope:SCOPE_SE
	s_wait_dscnt 0x0
	s_barrier_signal -1
	s_barrier_wait -1
	v_mul_lo_u16 v0, 0xf1, v0
	v_and_b32_e32 v11, 0xffff, v6
	global_inv scope:SCOPE_SE
	v_lshrrev_b16 v0, 12, v0
	s_delay_alu instid0(VALU_DEP_1) | instskip(NEXT) | instid1(VALU_DEP_1)
	v_mul_lo_u16 v8, v0, 17
	v_sub_nc_u16 v8, v40, v8
	s_delay_alu instid0(VALU_DEP_1) | instskip(SKIP_1) | instid1(VALU_DEP_2)
	v_and_b32_e32 v37, 0xff, v8
	v_mul_u32_u24_e32 v8, 0xf0f1, v11
	v_lshlrev_b32_e32 v11, 4, v37
	s_delay_alu instid0(VALU_DEP_2)
	v_lshrrev_b32_e32 v75, 20, v8
	v_lshlrev_b32_e32 v37, 3, v37
	global_load_b128 v[12:15], v11, s[8:9]
	v_add_nc_u32_e32 v45, 0x66, v40
	v_add_nc_u32_e32 v44, 0xcc, v40
	;; [unrolled: 1-line block ×3, first 2 shown]
	s_delay_alu instid0(VALU_DEP_3) | instskip(NEXT) | instid1(VALU_DEP_3)
	v_and_b32_e32 v53, 0xff, v45
	v_and_b32_e32 v52, 0xffff, v44
	s_delay_alu instid0(VALU_DEP_3) | instskip(NEXT) | instid1(VALU_DEP_3)
	v_and_b32_e32 v9, 0xffff, v1
	v_mul_lo_u16 v7, 0xf1, v53
	s_delay_alu instid0(VALU_DEP_3) | instskip(NEXT) | instid1(VALU_DEP_3)
	v_mul_u32_u24_e32 v10, 0xf0f1, v52
	v_mul_u32_u24_e32 v9, 0xf0f1, v9
	s_delay_alu instid0(VALU_DEP_3) | instskip(NEXT) | instid1(VALU_DEP_3)
	v_lshrrev_b16 v7, 12, v7
	v_lshrrev_b32_e32 v36, 20, v10
	s_delay_alu instid0(VALU_DEP_3) | instskip(NEXT) | instid1(VALU_DEP_3)
	v_lshrrev_b32_e32 v74, 20, v9
	v_mul_lo_u16 v10, v7, 17
	s_delay_alu instid0(VALU_DEP_3) | instskip(NEXT) | instid1(VALU_DEP_3)
	v_mul_lo_u16 v9, v36, 17
	v_mul_lo_u16 v8, v74, 17
	v_and_b32_e32 v7, 0xffff, v7
	v_mul_u32_u24_e32 v36, 0x198, v36
	v_sub_nc_u16 v10, v45, v10
	v_sub_nc_u16 v9, v44, v9
	;; [unrolled: 1-line block ×3, first 2 shown]
	v_mul_u32_u24_e32 v7, 0x198, v7
	v_mul_u32_u24_e32 v74, 0x198, v74
	v_and_b32_e32 v76, 0xff, v10
	v_mul_lo_u16 v10, v75, 17
	v_and_b32_e32 v77, 0xffff, v9
	v_and_b32_e32 v78, 0xffff, v1
	v_mul_u32_u24_e32 v75, 0x198, v75
	v_lshlrev_b32_e32 v8, 4, v76
	v_sub_nc_u16 v6, v6, v10
	v_lshlrev_b32_e32 v1, 4, v77
	s_clause 0x1
	global_load_b128 v[16:19], v8, s[8:9]
	global_load_b128 v[20:23], v1, s[8:9]
	v_and_b32_e32 v6, 0xffff, v6
	v_lshlrev_b32_e32 v8, 4, v78
	s_delay_alu instid0(VALU_DEP_2)
	v_lshlrev_b32_e32 v1, 4, v6
	s_clause 0x1
	global_load_b128 v[24:27], v8, s[8:9]
	global_load_b128 v[28:31], v1, s[8:9]
	ds_load_2addr_b64 v[32:35], v46 offset1:102
	ds_load_2addr_b64 v[8:11], v51 offset0:152 offset1:254
	v_add_nc_u32_e32 v51, 0x1c00, v46
	ds_load_2addr_b64 v[54:57], v50 offset0:100 offset1:202
	ds_load_2addr_b64 v[58:61], v47 offset0:76 offset1:178
	;; [unrolled: 1-line block ×3, first 2 shown]
	v_and_b32_e32 v50, 0xffff, v0
	ds_load_2addr_b64 v[66:69], v49 offset0:48 offset1:150
	ds_load_b64 v[0:1], v46 offset:11424
	ds_load_2addr_b64 v[70:73], v51 offset0:124 offset1:226
	global_wb scope:SCOPE_SE
	s_wait_loadcnt_dscnt 0x0
	v_mul_u32_u24_e32 v50, 0x198, v50
	s_barrier_signal -1
	s_barrier_wait -1
	global_inv scope:SCOPE_SE
	v_add3_u32 v37, 0, v50, v37
	v_lshlrev_b32_e32 v50, 3, v76
	v_lshlrev_b32_e32 v76, 3, v77
	s_delay_alu instid0(VALU_DEP_2) | instskip(NEXT) | instid1(VALU_DEP_2)
	v_add3_u32 v50, 0, v7, v50
	v_add3_u32 v36, 0, v36, v76
	v_mul_f32_e32 v7, v13, v11
	v_mul_f32_e32 v76, v15, v71
	;; [unrolled: 1-line block ×4, first 2 shown]
	s_delay_alu instid0(VALU_DEP_4) | instskip(NEXT) | instid1(VALU_DEP_4)
	v_fmac_f32_e32 v7, v12, v10
	v_fmac_f32_e32 v76, v14, v70
	s_delay_alu instid0(VALU_DEP_4) | instskip(SKIP_2) | instid1(VALU_DEP_1)
	v_fma_f32 v10, v14, v71, -v15
	v_dual_mul_f32 v14, v19, v72 :: v_dual_mul_f32 v15, v57, v21
	v_lshlrev_b32_e32 v6, 3, v6
	v_add3_u32 v75, 0, v75, v6
	v_fma_f32 v6, v12, v11, -v13
	v_mul_f32_e32 v11, v17, v55
	v_dual_mul_f32 v12, v17, v54 :: v_dual_mul_f32 v13, v19, v73
	v_mul_f32_e32 v17, v56, v21
	v_mul_f32_e32 v19, v63, v23
	;; [unrolled: 1-line block ×4, first 2 shown]
	v_dual_mul_f32 v25, v66, v25 :: v_dual_mul_f32 v70, v65, v27
	v_fma_f32 v12, v16, v55, -v12
	v_lshlrev_b32_e32 v77, 3, v78
	s_delay_alu instid0(VALU_DEP_4)
	v_fmac_f32_e32 v23, v66, v24
	v_fmac_f32_e32 v19, v62, v22
	v_dual_fmac_f32 v70, v64, v26 :: v_dual_fmac_f32 v13, v18, v72
	v_fma_f32 v18, v18, v73, -v14
	v_mul_f32_e32 v71, v69, v29
	v_fma_f32 v14, v57, v20, -v17
	v_mul_f32_e32 v27, v64, v27
	v_fma_f32 v21, v63, v22, -v21
	s_delay_alu instid0(VALU_DEP_4) | instskip(SKIP_2) | instid1(VALU_DEP_1)
	v_dual_add_f32 v22, v33, v6 :: v_dual_fmac_f32 v71, v68, v28
	v_fmac_f32_e32 v15, v56, v20
	v_dual_mul_f32 v29, v68, v29 :: v_dual_sub_f32 v20, v6, v10
	v_fma_f32 v17, v69, v28, -v29
	v_add_f32_e32 v28, v35, v12
	v_add3_u32 v74, 0, v74, v77
	v_mul_f32_e32 v77, v1, v31
	s_delay_alu instid0(VALU_DEP_4) | instskip(SKIP_1) | instid1(VALU_DEP_3)
	v_dual_add_f32 v68, v9, v17 :: v_dual_mul_f32 v31, v0, v31
	v_add_f32_e32 v56, v23, v70
	v_fmac_f32_e32 v77, v0, v30
	v_sub_f32_e32 v64, v23, v70
	v_add_f32_e32 v0, v32, v7
	s_delay_alu instid0(VALU_DEP_3)
	v_dual_add_f32 v66, v71, v77 :: v_dual_fmac_f32 v11, v16, v54
	v_fma_f32 v16, v67, v24, -v25
	v_fma_f32 v25, v1, v30, -v31
	v_add_f32_e32 v1, v7, v76
	v_fma_f32 v24, v65, v26, -v27
	v_add_f32_e32 v26, v6, v10
	v_add_f32_e32 v62, v61, v16
	;; [unrolled: 1-line block ×3, first 2 shown]
	v_fma_f32 v6, -0.5, v1, v32
	v_dual_add_f32 v1, v22, v10 :: v_dual_sub_f32 v54, v15, v19
	v_dual_add_f32 v22, v11, v13 :: v_dual_add_nc_u32 v49, 0xc00, v46
	v_add_f32_e32 v10, v34, v11
	v_dual_add_f32 v32, v59, v14 :: v_dual_sub_f32 v57, v16, v24
	v_add_f32_e32 v55, v60, v23
	v_sub_f32_e32 v67, v17, v25
	v_fma_f32 v34, -0.5, v22, v34
	v_fma_f32 v60, -0.5, v56, v60
	v_dual_add_f32 v63, v16, v24 :: v_dual_add_f32 v16, v10, v13
	v_add_f32_e32 v65, v8, v71
	v_sub_f32_e32 v27, v7, v76
	v_fma_f32 v7, -0.5, v26, v33
	v_dual_sub_f32 v26, v12, v18 :: v_dual_sub_f32 v31, v14, v21
	v_dual_add_f32 v33, v14, v21 :: v_dual_fmamk_f32 v14, v20, 0xbf5db3d7, v6
	v_fmac_f32_e32 v6, 0x3f5db3d7, v20
	v_fma_f32 v20, -0.5, v30, v58
	v_dual_add_f32 v12, v12, v18 :: v_dual_sub_f32 v29, v11, v13
	v_add_f32_e32 v23, v62, v24
	v_fmamk_f32 v24, v26, 0xbf5db3d7, v34
	v_fma_f32 v8, -0.5, v66, v8
	v_add_f32_e32 v69, v17, v25
	v_add_f32_e32 v17, v28, v18
	v_fmac_f32_e32 v34, 0x3f5db3d7, v26
	v_fmamk_f32 v26, v31, 0xbf5db3d7, v20
	v_fmac_f32_e32 v20, 0x3f5db3d7, v31
	v_dual_fmamk_f32 v28, v57, 0xbf5db3d7, v60 :: v_dual_add_f32 v11, v58, v15
	v_dual_add_f32 v22, v55, v70 :: v_dual_fmac_f32 v35, -0.5, v12
	v_dual_fmac_f32 v60, 0x3f5db3d7, v57 :: v_dual_fmac_f32 v61, -0.5, v63
	s_delay_alu instid0(VALU_DEP_3)
	v_dual_add_f32 v18, v11, v19 :: v_dual_add_f32 v19, v32, v21
	v_fma_f32 v21, -0.5, v33, v59
	v_dual_add_f32 v0, v0, v76 :: v_dual_sub_f32 v71, v71, v77
	v_fmamk_f32 v12, v67, 0xbf5db3d7, v8
	v_dual_add_f32 v10, v65, v77 :: v_dual_fmamk_f32 v15, v27, 0x3f5db3d7, v7
	v_dual_fmac_f32 v8, 0x3f5db3d7, v67 :: v_dual_fmac_f32 v9, -0.5, v69
	v_fmac_f32_e32 v7, 0xbf5db3d7, v27
	v_add_f32_e32 v11, v68, v25
	v_fmamk_f32 v25, v29, 0x3f5db3d7, v35
	v_fmac_f32_e32 v35, 0xbf5db3d7, v29
	v_fmamk_f32 v27, v54, 0x3f5db3d7, v21
	v_fmac_f32_e32 v21, 0xbf5db3d7, v54
	;; [unrolled: 2-line block ×4, first 2 shown]
	ds_store_2addr_b64 v37, v[0:1], v[14:15] offset1:17
	ds_store_b64 v37, v[6:7] offset:272
	ds_store_2addr_b64 v50, v[16:17], v[24:25] offset1:17
	ds_store_b64 v50, v[34:35] offset:272
	ds_store_2addr_b64 v36, v[18:19], v[26:27] offset1:17
	ds_store_b64 v36, v[20:21] offset:272
	ds_store_2addr_b64 v74, v[22:23], v[28:29] offset1:17
	ds_store_b64 v74, v[60:61] offset:272
	ds_store_2addr_b64 v75, v[10:11], v[12:13] offset1:17
	ds_store_b64 v75, v[8:9] offset:272
	global_wb scope:SCOPE_SE
	s_wait_dscnt 0x0
	s_barrier_signal -1
	s_barrier_wait -1
	global_inv scope:SCOPE_SE
	ds_load_2addr_b64 v[14:17], v46 offset1:102
	ds_load_2addr_b64 v[22:25], v47 offset0:127 offset1:229
	ds_load_2addr_b64 v[18:21], v49 offset0:126 offset1:228
	;; [unrolled: 1-line block ×5, first 2 shown]
	s_and_saveexec_b32 s1, s0
	s_cbranch_execz .LBB0_25
; %bb.24:
	v_add_nc_u32_e32 v0, 0x1650, v46
	v_add_nc_u32_e32 v4, 0x660, v46
	ds_load_2addr_b64 v[0:3], v0 offset1:255
	s_wait_dscnt 0x0
	v_dual_mov_b32 v8, v0 :: v_dual_add_nc_u32 v5, 0x2640, v46
	ds_load_2addr_b64 v[10:13], v4 offset1:255
	ds_load_2addr_b64 v[4:7], v5 offset1:255
	v_mov_b32_e32 v9, v1
.LBB0_25:
	s_wait_alu 0xfffe
	s_or_b32 exec_lo, exec_lo, s1
	v_subrev_nc_u32_e32 v0, 51, v40
	v_mov_b32_e32 v1, 0
	v_mul_lo_u16 v47, 0xa1, v53
	s_delay_alu instid0(VALU_DEP_3) | instskip(NEXT) | instid1(VALU_DEP_2)
	v_cndmask_b32_e64 v41, v0, v40, s0
	v_lshrrev_b16 v51, 13, v47
	s_delay_alu instid0(VALU_DEP_2) | instskip(NEXT) | instid1(VALU_DEP_1)
	v_mul_i32_i24_e32 v0, 5, v41
	v_lshlrev_b64_e32 v[47:48], 3, v[0:1]
	s_delay_alu instid0(VALU_DEP_3) | instskip(NEXT) | instid1(VALU_DEP_1)
	v_mul_lo_u16 v0, v51, 51
	v_sub_nc_u16 v0, v45, v0
	s_delay_alu instid0(VALU_DEP_3) | instskip(SKIP_1) | instid1(VALU_DEP_4)
	v_add_co_u32 v57, s1, s8, v47
	s_wait_alu 0xf1ff
	v_add_co_ci_u32_e64 v58, s1, s9, v48, s1
	s_delay_alu instid0(VALU_DEP_3)
	v_and_b32_e32 v0, 0xff, v0
	v_cmp_lt_u32_e64 s1, 50, v40
	s_clause 0x2
	global_load_b128 v[47:50], v[57:58], off offset:272
	global_load_b128 v[53:56], v[57:58], off offset:288
	global_load_b64 v[65:66], v[57:58], off offset:304
	v_mul_u32_u24_e32 v57, 5, v0
	v_and_b32_e32 v51, 0xffff, v51
	s_wait_alu 0xf1ff
	v_cndmask_b32_e64 v69, 0, 0x990, s1
	v_lshlrev_b32_e32 v41, 3, v41
	v_lshlrev_b32_e32 v0, 3, v0
	s_wait_loadcnt_dscnt 0x102
	v_dual_mul_f32 v70, v54, v27 :: v_dual_lshlrev_b32 v67, 3, v57
	s_delay_alu instid0(VALU_DEP_3)
	v_add3_u32 v41, 0, v69, v41
	v_mul_f32_e32 v69, v50, v19
	v_mul_f32_e32 v50, v50, v18
	v_mul_u32_u24_e32 v51, 0x990, v51
	s_wait_dscnt 0x1
	v_dual_mul_f32 v54, v54, v26 :: v_dual_mul_f32 v71, v56, v31
	v_mul_f32_e32 v56, v56, v30
	s_delay_alu instid0(VALU_DEP_3)
	v_add3_u32 v0, 0, v51, v0
	v_mul_f32_e32 v51, v48, v23
	v_mul_f32_e32 v48, v48, v22
	s_clause 0x2
	global_load_b128 v[57:60], v67, s[8:9] offset:272
	global_load_b128 v[61:64], v67, s[8:9] offset:288
	global_load_b64 v[67:68], v67, s[8:9] offset:304
	s_wait_loadcnt_dscnt 0x300
	v_mul_f32_e32 v72, v66, v35
	v_mul_f32_e32 v66, v66, v34
	v_fmac_f32_e32 v51, v47, v22
	v_fma_f32 v22, v47, v23, -v48
	v_fmac_f32_e32 v69, v49, v18
	v_fma_f32 v18, v49, v19, -v50
	v_fmac_f32_e32 v70, v53, v26
	v_fmac_f32_e32 v71, v55, v30
	v_fma_f32 v23, v55, v31, -v56
	v_fmac_f32_e32 v72, v65, v34
	v_fma_f32 v19, v53, v27, -v54
	global_wb scope:SCOPE_SE
	s_wait_loadcnt 0x0
	s_barrier_signal -1
	s_barrier_wait -1
	global_inv scope:SCOPE_SE
	v_sub_f32_e32 v56, v18, v23
	v_dual_mul_f32 v34, v58, v25 :: v_dual_mul_f32 v31, v60, v20
	v_fma_f32 v26, v65, v35, -v66
	v_mul_f32_e32 v35, v62, v29
	v_dual_mul_f32 v27, v58, v24 :: v_dual_mul_f32 v30, v60, v21
	v_dual_mul_f32 v47, v62, v28 :: v_dual_add_f32 v58, v15, v18
	v_dual_mul_f32 v49, v32, v64 :: v_dual_add_f32 v54, v14, v69
	v_mul_f32_e32 v50, v37, v68
	v_mul_f32_e32 v53, v36, v68
	v_dual_add_f32 v55, v69, v71 :: v_dual_add_f32 v62, v51, v70
	v_dual_add_f32 v18, v18, v23 :: v_dual_fmac_f32 v35, v61, v28
	v_dual_fmac_f32 v34, v57, v24 :: v_dual_add_f32 v23, v58, v23
	v_dual_mul_f32 v48, v33, v64 :: v_dual_sub_f32 v65, v19, v26
	v_fma_f32 v24, v57, v25, -v27
	v_fmac_f32_e32 v30, v59, v20
	v_fma_f32 v20, v59, v21, -v31
	v_dual_add_f32 v66, v22, v19 :: v_dual_add_f32 v19, v19, v26
	v_fma_f32 v21, v61, v29, -v47
	v_fma_f32 v25, v33, v63, -v49
	v_fma_f32 v29, -0.5, v55, v14
	v_add_f32_e32 v47, v34, v35
	v_fmac_f32_e32 v50, v36, v67
	v_add_f32_e32 v64, v70, v72
	v_fmac_f32_e32 v48, v32, v63
	v_fma_f32 v27, v37, v67, -v53
	v_sub_f32_e32 v68, v70, v72
	v_dual_add_f32 v28, v54, v71 :: v_dual_fmamk_f32 v55, v56, 0xbf5db3d7, v29
	v_fma_f32 v31, -0.5, v18, v15
	v_dual_add_f32 v37, v17, v20 :: v_dual_add_f32 v26, v66, v26
	v_dual_fmac_f32 v29, 0x3f5db3d7, v56 :: v_dual_sub_f32 v36, v20, v25
	v_dual_add_f32 v20, v20, v25 :: v_dual_add_f32 v49, v35, v50
	v_dual_sub_f32 v60, v69, v71 :: v_dual_fmac_f32 v51, -0.5, v64
	v_fmac_f32_e32 v22, -0.5, v19
	v_sub_f32_e32 v53, v21, v27
	v_sub_f32_e32 v35, v35, v50
	s_delay_alu instid0(VALU_DEP_4)
	v_dual_add_f32 v33, v30, v48 :: v_dual_fmamk_f32 v56, v60, 0x3f5db3d7, v31
	v_add_f32_e32 v25, v37, v25
	v_fmac_f32_e32 v31, 0xbf5db3d7, v60
	v_dual_sub_f32 v19, v23, v26 :: v_dual_add_f32 v54, v24, v21
	v_dual_fmac_f32 v17, -0.5, v20 :: v_dual_fmamk_f32 v58, v68, 0x3f5db3d7, v22
	v_dual_add_f32 v18, v62, v72 :: v_dual_add_f32 v21, v21, v27
	v_dual_add_f32 v32, v16, v30 :: v_dual_fmamk_f32 v57, v65, 0xbf5db3d7, v51
	v_fma_f32 v16, -0.5, v33, v16
	v_dual_add_f32 v27, v54, v27 :: v_dual_fmac_f32 v22, 0xbf5db3d7, v68
	v_dual_mul_f32 v33, 0.5, v58 :: v_dual_sub_f32 v30, v30, v48
	v_dual_fmac_f32 v51, 0x3f5db3d7, v65 :: v_dual_add_f32 v14, v28, v18
	v_add_f32_e32 v15, v23, v26
	v_sub_f32_e32 v18, v28, v18
	v_dual_add_f32 v23, v32, v48 :: v_dual_add_f32 v26, v47, v50
	v_dual_fmac_f32 v34, -0.5, v49 :: v_dual_mul_f32 v37, -0.5, v22
	v_fmac_f32_e32 v24, -0.5, v21
	v_dual_mul_f32 v28, 0xbf5db3d7, v58 :: v_dual_fmamk_f32 v47, v36, 0xbf5db3d7, v16
	v_dual_fmac_f32 v16, 0x3f5db3d7, v36 :: v_dual_fmac_f32 v33, 0x3f5db3d7, v57
	v_fmamk_f32 v36, v30, 0x3f5db3d7, v17
	v_fmac_f32_e32 v17, 0xbf5db3d7, v30
	v_fmamk_f32 v30, v35, 0x3f5db3d7, v24
	v_fmac_f32_e32 v24, 0xbf5db3d7, v35
	v_mul_f32_e32 v32, 0xbf5db3d7, v22
	v_dual_add_f32 v20, v23, v26 :: v_dual_add_f32 v21, v25, v27
	v_dual_sub_f32 v22, v23, v26 :: v_dual_sub_f32 v23, v25, v27
	v_fmac_f32_e32 v37, 0x3f5db3d7, v51
	v_dual_add_f32 v25, v56, v33 :: v_dual_fmamk_f32 v48, v53, 0xbf5db3d7, v34
	v_mul_f32_e32 v35, 0xbf5db3d7, v30
	v_fmac_f32_e32 v34, 0x3f5db3d7, v53
	s_delay_alu instid0(VALU_DEP_4) | instskip(SKIP_3) | instid1(VALU_DEP_3)
	v_add_f32_e32 v27, v31, v37
	v_dual_mul_f32 v49, 0xbf5db3d7, v24 :: v_dual_fmac_f32 v28, 0.5, v57
	v_dual_fmac_f32 v32, -0.5, v51 :: v_dual_sub_f32 v31, v31, v37
	v_mul_f32_e32 v51, -0.5, v24
	v_dual_fmac_f32 v49, -0.5, v34 :: v_dual_add_f32 v24, v55, v28
	v_fmac_f32_e32 v35, 0.5, v48
	s_delay_alu instid0(VALU_DEP_3)
	v_fmac_f32_e32 v51, 0x3f5db3d7, v34
	v_mul_f32_e32 v50, 0.5, v30
	ds_store_2addr_b64 v41, v[14:15], v[24:25] offset1:51
	v_sub_f32_e32 v30, v29, v32
	v_add_f32_e32 v14, v47, v35
	v_dual_add_f32 v25, v17, v51 :: v_dual_fmac_f32 v50, 0x3f5db3d7, v48
	v_sub_f32_e32 v17, v17, v51
	v_add_f32_e32 v26, v29, v32
	v_dual_sub_f32 v28, v55, v28 :: v_dual_sub_f32 v29, v56, v33
	s_delay_alu instid0(VALU_DEP_4)
	v_sub_f32_e32 v33, v36, v50
	v_add_f32_e32 v15, v36, v50
	v_add_f32_e32 v24, v16, v49
	v_sub_f32_e32 v32, v47, v35
	v_sub_f32_e32 v16, v16, v49
	ds_store_2addr_b64 v41, v[26:27], v[18:19] offset0:102 offset1:153
	ds_store_2addr_b64 v41, v[28:29], v[30:31] offset0:204 offset1:255
	ds_store_2addr_b64 v0, v[20:21], v[14:15] offset1:51
	ds_store_2addr_b64 v0, v[24:25], v[22:23] offset0:102 offset1:153
	ds_store_2addr_b64 v0, v[32:33], v[16:17] offset0:204 offset1:255
	s_and_saveexec_b32 s1, s0
	s_cbranch_execz .LBB0_27
; %bb.26:
	v_mul_u32_u24_e32 v0, 0xa0a1, v52
	s_delay_alu instid0(VALU_DEP_1) | instskip(NEXT) | instid1(VALU_DEP_1)
	v_lshrrev_b32_e32 v0, 21, v0
	v_mul_lo_u16 v0, v0, 51
	s_delay_alu instid0(VALU_DEP_1) | instskip(NEXT) | instid1(VALU_DEP_1)
	v_sub_nc_u16 v0, v44, v0
	v_and_b32_e32 v0, 0xffff, v0
	s_delay_alu instid0(VALU_DEP_1) | instskip(NEXT) | instid1(VALU_DEP_1)
	v_mul_u32_u24_e32 v14, 5, v0
	v_lshlrev_b32_e32 v22, 3, v14
	s_clause 0x2
	global_load_b128 v[14:17], v22, s[8:9] offset:272
	global_load_b128 v[18:21], v22, s[8:9] offset:288
	global_load_b64 v[22:23], v22, s[8:9] offset:304
	s_wait_loadcnt 0x2
	v_mul_f32_e32 v25, v8, v17
	v_mul_f32_e32 v17, v9, v17
	v_lshl_add_u32 v0, v0, 3, 0
	s_wait_loadcnt 0x0
	v_dual_mul_f32 v26, v4, v21 :: v_dual_mul_f32 v29, v7, v23
	s_delay_alu instid0(VALU_DEP_3) | instskip(NEXT) | instid1(VALU_DEP_3)
	v_dual_mul_f32 v28, v3, v19 :: v_dual_fmac_f32 v17, v8, v16
	v_dual_mul_f32 v21, v5, v21 :: v_dual_add_nc_u32 v24, 0x2000, v0
	v_dual_mul_f32 v27, v13, v15 :: v_dual_add_nc_u32 v0, 0x2800, v0
	s_delay_alu instid0(VALU_DEP_3) | instskip(SKIP_4) | instid1(VALU_DEP_3)
	v_dual_mul_f32 v15, v12, v15 :: v_dual_fmac_f32 v28, v2, v18
	v_fma_f32 v9, v9, v16, -v25
	v_fma_f32 v5, v5, v20, -v26
	v_mul_f32_e32 v19, v2, v19
	v_fmac_f32_e32 v29, v6, v22
	v_dual_mul_f32 v23, v6, v23 :: v_dual_add_f32 v6, v9, v5
	s_delay_alu instid0(VALU_DEP_3) | instskip(NEXT) | instid1(VALU_DEP_3)
	v_fma_f32 v2, v3, v18, -v19
	v_add_f32_e32 v8, v28, v29
	s_delay_alu instid0(VALU_DEP_3)
	v_fma_f32 v3, v7, v22, -v23
	v_fmac_f32_e32 v21, v4, v20
	v_fmac_f32_e32 v27, v12, v14
	v_fma_f32 v4, v13, v14, -v15
	v_fma_f32 v19, -0.5, v6, v11
	v_sub_f32_e32 v12, v2, v3
	v_add_f32_e32 v16, v17, v21
	v_dual_add_f32 v18, v27, v28 :: v_dual_add_f32 v13, v2, v3
	v_sub_f32_e32 v14, v28, v29
	v_dual_sub_f32 v7, v17, v21 :: v_dual_add_f32 v2, v4, v2
	v_add_f32_e32 v15, v11, v9
	v_fma_f32 v6, -0.5, v8, v27
	v_add_f32_e32 v17, v10, v17
	v_fma_f32 v4, -0.5, v13, v4
	v_dual_sub_f32 v9, v9, v5 :: v_dual_add_f32 v8, v2, v3
	v_add_f32_e32 v5, v15, v5
	v_fma_f32 v15, -0.5, v16, v10
	v_fmamk_f32 v16, v12, 0x3f5db3d7, v6
	v_fmac_f32_e32 v6, 0xbf5db3d7, v12
	v_dual_add_f32 v10, v17, v21 :: v_dual_fmamk_f32 v13, v7, 0xbf5db3d7, v19
	v_fmamk_f32 v17, v14, 0xbf5db3d7, v4
	v_dual_fmac_f32 v4, 0x3f5db3d7, v14 :: v_dual_add_f32 v11, v18, v29
	v_fmamk_f32 v14, v9, 0x3f5db3d7, v15
	v_sub_f32_e32 v3, v5, v8
	s_delay_alu instid0(VALU_DEP_3) | instskip(SKIP_2) | instid1(VALU_DEP_3)
	v_dual_fmac_f32 v15, 0xbf5db3d7, v9 :: v_dual_mul_f32 v18, 0.5, v4
	v_dual_fmac_f32 v19, 0x3f5db3d7, v7 :: v_dual_mul_f32 v12, -0.5, v17
	v_mul_f32_e32 v17, 0xbf5db3d7, v17
	v_dual_add_f32 v5, v5, v8 :: v_dual_fmac_f32 v18, 0x3f5db3d7, v6
	v_mul_f32_e32 v8, 0xbf5db3d7, v4
	s_delay_alu instid0(VALU_DEP_4) | instskip(NEXT) | instid1(VALU_DEP_4)
	v_fmac_f32_e32 v12, 0x3f5db3d7, v16
	v_dual_add_f32 v4, v10, v11 :: v_dual_fmac_f32 v17, -0.5, v16
	v_sub_f32_e32 v2, v10, v11
	s_delay_alu instid0(VALU_DEP_4) | instskip(SKIP_1) | instid1(VALU_DEP_4)
	v_fmac_f32_e32 v8, 0.5, v6
	v_sub_f32_e32 v9, v19, v18
	v_dual_sub_f32 v7, v13, v12 :: v_dual_sub_f32 v6, v14, v17
	v_dual_add_f32 v11, v13, v12 :: v_dual_add_f32 v10, v14, v17
	v_add_f32_e32 v13, v19, v18
	v_add_f32_e32 v12, v15, v8
	v_sub_f32_e32 v8, v15, v8
	ds_store_2addr_b64 v24, v[4:5], v[12:13] offset0:200 offset1:251
	ds_store_2addr_b64 v0, v[10:11], v[2:3] offset0:46 offset1:97
	;; [unrolled: 1-line block ×3, first 2 shown]
.LBB0_27:
	s_wait_alu 0xfffe
	s_or_b32 exec_lo, exec_lo, s1
	v_lshlrev_b32_e32 v0, 2, v40
	global_wb scope:SCOPE_SE
	s_wait_dscnt 0x0
	s_barrier_signal -1
	s_barrier_wait -1
	global_inv scope:SCOPE_SE
	v_lshlrev_b64_e32 v[2:3], 3, v[0:1]
	s_delay_alu instid0(VALU_DEP_1) | instskip(SKIP_1) | instid1(VALU_DEP_2)
	v_add_co_u32 v2, s0, s8, v2
	s_wait_alu 0xf1ff
	v_add_co_ci_u32_e64 v3, s0, s9, v3, s0
	s_clause 0x1
	global_load_b128 v[10:13], v[2:3], off offset:2312
	global_load_b128 v[14:17], v[2:3], off offset:2328
	v_lshlrev_b32_e32 v0, 2, v45
	v_add_nc_u32_e32 v8, 0x400, v46
	v_add_nc_u32_e32 v41, 0xc00, v46
	;; [unrolled: 1-line block ×3, first 2 shown]
	s_delay_alu instid0(VALU_DEP_4) | instskip(SKIP_2) | instid1(VALU_DEP_2)
	v_lshlrev_b64_e32 v[4:5], 3, v[0:1]
	v_lshlrev_b32_e32 v0, 2, v44
	v_add_nc_u32_e32 v44, 0x2000, v46
	v_lshlrev_b64_e32 v[0:1], 3, v[0:1]
	s_delay_alu instid0(VALU_DEP_4) | instskip(SKIP_2) | instid1(VALU_DEP_3)
	v_add_co_u32 v2, s0, s8, v4
	s_wait_alu 0xf1ff
	v_add_co_ci_u32_e64 v3, s0, s9, v5, s0
	v_add_co_u32 v0, s0, s8, v0
	s_clause 0x1
	global_load_b128 v[18:21], v[2:3], off offset:2312
	global_load_b128 v[22:25], v[2:3], off offset:2328
	s_wait_alu 0xf1ff
	v_add_co_ci_u32_e64 v1, s0, s9, v1, s0
	s_clause 0x1
	global_load_b128 v[26:29], v[0:1], off offset:2312
	global_load_b128 v[30:33], v[0:1], off offset:2328
	ds_load_2addr_b64 v[0:3], v8 offset0:76 offset1:178
	ds_load_2addr_b64 v[34:37], v41 offset0:126 offset1:228
	;; [unrolled: 1-line block ×3, first 2 shown]
	ds_load_2addr_b64 v[4:7], v46 offset1:102
	ds_load_2addr_b64 v[51:54], v44 offset0:98 offset1:200
	v_add_nc_u32_e32 v55, 0x1400, v46
	v_add_nc_u32_e32 v59, 0x2800, v46
	s_wait_loadcnt_dscnt 0x503
	v_dual_mul_f32 v67, v13, v37 :: v_dual_add_nc_u32 v64, 0x2400, v46
	s_wait_loadcnt_dscnt 0x402
	v_mul_f32_e32 v68, v15, v48
	ds_load_2addr_b32 v[44:45], v41 offset0:48 offset1:49
	ds_load_2addr_b64 v[55:58], v55 offset0:74 offset1:176
	ds_load_2addr_b64 v[59:62], v59 offset0:46 offset1:148
	v_mul_f32_e32 v41, v11, v3
	v_mul_f32_e32 v11, v11, v2
	;; [unrolled: 1-line block ×3, first 2 shown]
	v_add_nc_u32_e32 v63, 0x1000, v46
	v_mul_f32_e32 v13, v13, v36
	s_wait_dscnt 0x3
	v_mul_f32_e32 v69, v17, v54
	v_mul_f32_e32 v17, v17, v53
	v_fmac_f32_e32 v41, v10, v2
	v_fma_f32 v2, v10, v3, -v11
	v_fmac_f32_e32 v68, v14, v47
	v_fma_f32 v11, v14, v48, -v15
	v_add_nc_u32_e32 v65, 0x800, v46
	v_dual_fmac_f32 v67, v12, v36 :: v_dual_add_nc_u32 v66, 0x1c00, v46
	v_fma_f32 v3, v12, v37, -v13
	v_fma_f32 v17, v16, v54, -v17
	global_wb scope:SCOPE_SE
	s_wait_loadcnt_dscnt 0x0
	s_barrier_signal -1
	v_mul_f32_e32 v14, v56, v21
	v_dual_mul_f32 v10, v45, v19 :: v_dual_fmac_f32 v69, v16, v53
	v_mul_f32_e32 v12, v19, v44
	v_dual_mul_f32 v36, v60, v25 :: v_dual_mul_f32 v19, v50, v23
	v_mul_f32_e32 v16, v59, v25
	v_fmac_f32_e32 v14, v55, v20
	v_mul_f32_e32 v13, v55, v21
	v_dual_mul_f32 v15, v49, v23 :: v_dual_fmac_f32 v10, v18, v44
	v_fma_f32 v12, v45, v18, -v12
	v_dual_fmac_f32 v36, v59, v24 :: v_dual_fmac_f32 v19, v49, v22
	v_fma_f32 v25, v60, v24, -v16
	v_mul_f32_e32 v16, v35, v27
	v_add_f32_e32 v24, v4, v41
	v_sub_f32_e32 v44, v41, v67
	v_fma_f32 v18, v56, v20, -v13
	v_mul_f32_e32 v13, v34, v27
	v_dual_sub_f32 v45, v69, v68 :: v_dual_sub_f32 v70, v11, v17
	v_fma_f32 v21, v50, v22, -v15
	v_mul_f32_e32 v22, v58, v29
	v_dual_mul_f32 v15, v57, v29 :: v_dual_mul_f32 v20, v51, v31
	v_dual_mul_f32 v27, v52, v31 :: v_dual_sub_f32 v48, v67, v41
	v_dual_add_f32 v29, v67, v68 :: v_dual_sub_f32 v56, v17, v11
	v_dual_mul_f32 v31, v62, v33 :: v_dual_add_f32 v50, v5, v2
	v_dual_mul_f32 v23, v61, v33 :: v_dual_sub_f32 v54, v67, v68
	v_dual_sub_f32 v33, v2, v17 :: v_dual_sub_f32 v60, v3, v2
	v_dual_sub_f32 v37, v3, v11 :: v_dual_fmac_f32 v16, v34, v26
	v_dual_sub_f32 v49, v68, v69 :: v_dual_fmac_f32 v22, v57, v28
	v_add_f32_e32 v53, v3, v11
	v_sub_f32_e32 v55, v2, v3
	v_add_f32_e32 v59, v2, v17
	v_fma_f32 v26, v35, v26, -v13
	v_add_f32_e32 v13, v24, v67
	v_add_f32_e32 v24, v44, v45
	v_sub_f32_e32 v44, v12, v25
	v_dual_add_f32 v47, v41, v69 :: v_dual_add_f32 v34, v55, v56
	v_sub_f32_e32 v41, v41, v69
	v_dual_fmac_f32 v27, v51, v30 :: v_dual_sub_f32 v56, v14, v19
	v_fma_f32 v30, v52, v30, -v20
	v_fma_f32 v2, -0.5, v29, v4
	v_add_f32_e32 v20, v6, v10
	v_fma_f32 v28, v58, v28, -v15
	v_fmac_f32_e32 v31, v61, v32
	v_fma_f32 v32, v62, v32, -v23
	v_fma_f32 v4, -0.5, v47, v4
	v_add_f32_e32 v29, v48, v49
	v_dual_add_f32 v15, v50, v3 :: v_dual_sub_f32 v58, v25, v21
	v_fma_f32 v3, -0.5, v53, v5
	v_add_f32_e32 v23, v14, v19
	v_dual_sub_f32 v47, v10, v14 :: v_dual_sub_f32 v48, v36, v19
	v_fma_f32 v5, -0.5, v59, v5
	v_add_f32_e32 v49, v10, v36
	v_dual_sub_f32 v50, v14, v10 :: v_dual_sub_f32 v51, v19, v36
	v_add_f32_e32 v20, v20, v14
	v_dual_add_f32 v52, v7, v12 :: v_dual_add_f32 v35, v60, v70
	v_add_f32_e32 v62, v13, v68
	v_dual_sub_f32 v60, v18, v12 :: v_dual_sub_f32 v61, v21, v25
	v_sub_f32_e32 v55, v10, v36
	v_dual_sub_f32 v57, v12, v18 :: v_dual_fmamk_f32 v10, v33, 0xbf737871, v2
	v_add_f32_e32 v53, v18, v21
	v_add_f32_e32 v59, v12, v25
	v_dual_sub_f32 v45, v18, v21 :: v_dual_fmamk_f32 v12, v37, 0x3f737871, v4
	v_fmac_f32_e32 v2, 0x3f737871, v33
	v_dual_fmac_f32 v4, 0xbf737871, v37 :: v_dual_fmamk_f32 v13, v54, 0xbf737871, v5
	v_dual_fmac_f32 v5, 0x3f737871, v54 :: v_dual_sub_f32 v74, v26, v28
	v_fma_f32 v14, -0.5, v23, v6
	v_add_f32_e32 v47, v47, v48
	v_fma_f32 v6, -0.5, v49, v6
	v_dual_add_f32 v48, v50, v51 :: v_dual_add_f32 v23, v52, v18
	v_add_f32_e32 v76, v26, v32
	v_add_f32_e32 v50, v60, v61
	v_dual_add_f32 v51, v0, v16 :: v_dual_fmac_f32 v12, 0xbf167918, v33
	v_add_f32_e32 v52, v22, v27
	v_add_f32_e32 v60, v16, v31
	;; [unrolled: 1-line block ×3, first 2 shown]
	v_dual_add_f32 v67, v15, v11 :: v_dual_add_f32 v70, v1, v26
	v_dual_fmamk_f32 v11, v41, 0x3f737871, v3 :: v_dual_sub_f32 v68, v27, v31
	v_dual_fmac_f32 v3, 0xbf737871, v41 :: v_dual_sub_f32 v72, v16, v31
	v_dual_add_f32 v49, v57, v58 :: v_dual_fmac_f32 v10, 0xbf167918, v37
	v_sub_f32_e32 v58, v16, v22
	v_fma_f32 v15, -0.5, v53, v7
	v_dual_fmac_f32 v7, -0.5, v59 :: v_dual_fmac_f32 v2, 0x3f167918, v37
	v_dual_sub_f32 v53, v26, v32 :: v_dual_fmac_f32 v4, 0x3f167918, v33
	v_sub_f32_e32 v57, v28, v30
	v_dual_sub_f32 v59, v31, v27 :: v_dual_fmamk_f32 v18, v44, 0xbf737871, v14
	v_dual_sub_f32 v61, v22, v16 :: v_dual_sub_f32 v26, v28, v26
	v_dual_sub_f32 v77, v30, v32 :: v_dual_fmac_f32 v12, 0x3e9e377a, v29
	v_dual_add_f32 v33, v20, v19 :: v_dual_fmac_f32 v10, 0x3e9e377a, v24
	v_dual_fmamk_f32 v20, v45, 0x3f737871, v6 :: v_dual_sub_f32 v73, v22, v27
	v_fmac_f32_e32 v5, 0xbf167918, v41
	v_fmac_f32_e32 v6, 0xbf737871, v45
	;; [unrolled: 1-line block ×3, first 2 shown]
	v_dual_add_f32 v37, v23, v21 :: v_dual_fmac_f32 v2, 0x3e9e377a, v24
	v_dual_add_f32 v41, v51, v22 :: v_dual_fmac_f32 v4, 0x3e9e377a, v29
	v_fma_f32 v22, -0.5, v52, v0
	v_fma_f32 v0, -0.5, v60, v0
	;; [unrolled: 1-line block ×3, first 2 shown]
	v_sub_f32_e32 v75, v32, v30
	v_dual_fmac_f32 v11, 0x3f167918, v54 :: v_dual_add_f32 v24, v33, v36
	v_dual_fmac_f32 v3, 0xbf167918, v54 :: v_dual_fmac_f32 v18, 0xbf167918, v45
	v_fmac_f32_e32 v14, 0x3f737871, v44
	v_add_f32_e32 v54, v70, v28
	v_fmac_f32_e32 v1, -0.5, v76
	v_fmamk_f32 v21, v56, 0xbf737871, v7
	v_fmamk_f32 v19, v55, 0x3f737871, v15
	v_dual_fmac_f32 v15, 0xbf737871, v55 :: v_dual_add_f32 v16, v62, v69
	v_dual_fmac_f32 v7, 0x3f737871, v56 :: v_dual_fmamk_f32 v28, v57, 0x3f737871, v0
	v_dual_add_f32 v51, v58, v59 :: v_dual_fmac_f32 v14, 0x3f167918, v45
	v_dual_add_f32 v59, v26, v77 :: v_dual_fmac_f32 v18, 0x3e9e377a, v47
	v_fmamk_f32 v26, v53, 0xbf737871, v22
	v_dual_fmac_f32 v0, 0xbf737871, v57 :: v_dual_add_f32 v33, v41, v27
	v_dual_fmamk_f32 v27, v72, 0x3f737871, v23 :: v_dual_add_f32 v52, v61, v68
	v_dual_fmac_f32 v11, 0x3e9e377a, v34 :: v_dual_fmac_f32 v14, 0x3e9e377a, v47
	v_fmac_f32_e32 v20, 0xbf167918, v44
	v_fmac_f32_e32 v3, 0x3e9e377a, v34
	v_dual_add_f32 v34, v54, v30 :: v_dual_fmamk_f32 v29, v73, 0xbf737871, v1
	v_fmac_f32_e32 v22, 0x3f737871, v53
	s_delay_alu instid0(VALU_DEP_4)
	v_fmac_f32_e32 v20, 0x3e9e377a, v48
	v_fmac_f32_e32 v21, 0x3f167918, v55
	;; [unrolled: 1-line block ×5, first 2 shown]
	v_dual_fmac_f32 v15, 0xbf167918, v56 :: v_dual_fmac_f32 v26, 0xbf167918, v57
	v_dual_add_f32 v17, v67, v17 :: v_dual_add_f32 v58, v74, v75
	v_dual_fmac_f32 v0, 0x3f167918, v53 :: v_dual_fmac_f32 v19, 0x3f167918, v56
	v_dual_add_f32 v30, v33, v31 :: v_dual_fmac_f32 v27, 0x3f167918, v73
	v_dual_fmac_f32 v7, 0xbf167918, v55 :: v_dual_fmac_f32 v28, 0xbf167918, v53
	v_fmac_f32_e32 v29, 0x3f167918, v72
	v_fmac_f32_e32 v6, 0x3f167918, v44
	;; [unrolled: 1-line block ×3, first 2 shown]
	v_dual_add_f32 v25, v37, v25 :: v_dual_fmac_f32 v26, 0x3e9e377a, v51
	v_fmac_f32_e32 v21, 0x3e9e377a, v50
	v_fmac_f32_e32 v23, 0xbf167918, v73
	;; [unrolled: 1-line block ×3, first 2 shown]
	v_dual_fmac_f32 v15, 0x3e9e377a, v49 :: v_dual_fmac_f32 v0, 0x3e9e377a, v52
	v_add_f32_e32 v31, v34, v32
	v_dual_fmac_f32 v19, 0x3e9e377a, v49 :: v_dual_fmac_f32 v22, 0x3e9e377a, v51
	v_fmac_f32_e32 v27, 0x3e9e377a, v58
	v_dual_fmac_f32 v5, 0x3e9e377a, v35 :: v_dual_fmac_f32 v28, 0x3e9e377a, v52
	v_fmac_f32_e32 v29, 0x3e9e377a, v59
	s_barrier_wait -1
	global_inv scope:SCOPE_SE
	v_dual_fmac_f32 v6, 0x3e9e377a, v48 :: v_dual_fmac_f32 v7, 0x3e9e377a, v50
	ds_store_2addr_b64 v46, v[16:17], v[24:25] offset1:102
	v_fmac_f32_e32 v23, 0x3e9e377a, v58
	v_fmac_f32_e32 v1, 0x3e9e377a, v59
	ds_store_2addr_b64 v63, v[12:13], v[20:21] offset0:100 offset1:202
	ds_store_2addr_b64 v64, v[2:3], v[14:15] offset0:72 offset1:174
	;; [unrolled: 1-line block ×6, first 2 shown]
	ds_store_b64 v46, v[22:23] offset:11424
	global_wb scope:SCOPE_SE
	s_wait_dscnt 0x0
	s_barrier_signal -1
	s_barrier_wait -1
	global_inv scope:SCOPE_SE
	s_and_saveexec_b32 s0, vcc_lo
	s_cbranch_execz .LBB0_29
; %bb.28:
	v_mul_lo_u32 v0, s3, v42
	v_mul_lo_u32 v1, s2, v43
	v_mad_co_u64_u32 v[4:5], null, s2, v42, 0
	v_dual_mov_b32 v41, 0 :: v_dual_add_nc_u32 v8, 0x66, v40
	v_lshl_add_u32 v24, v40, 3, 0
	v_lshlrev_b64_e32 v[6:7], 3, v[38:39]
	s_delay_alu instid0(VALU_DEP_3) | instskip(SKIP_1) | instid1(VALU_DEP_4)
	v_dual_mov_b32 v9, v41 :: v_dual_add_nc_u32 v10, 0xcc, v40
	v_add3_u32 v5, v5, v1, v0
	v_dual_mov_b32 v11, v41 :: v_dual_add_nc_u32 v14, 0x400, v24
	ds_load_2addr_b64 v[0:3], v24 offset1:102
	v_lshlrev_b64_e32 v[12:13], 3, v[40:41]
	v_lshlrev_b64_e32 v[4:5], 3, v[4:5]
	;; [unrolled: 1-line block ×4, first 2 shown]
	v_dual_mov_b32 v17, v41 :: v_dual_add_nc_u32 v16, 0x198, v40
	v_add_nc_u32_e32 v18, 0x800, v24
	v_add_co_u32 v4, vcc_lo, s6, v4
	s_wait_alu 0xfffd
	v_add_co_ci_u32_e32 v5, vcc_lo, s7, v5, vcc_lo
	v_add_nc_u32_e32 v20, 0x1800, v24
	s_delay_alu instid0(VALU_DEP_3) | instskip(SKIP_1) | instid1(VALU_DEP_3)
	v_add_co_u32 v28, vcc_lo, v4, v6
	s_wait_alu 0xfffd
	v_add_co_ci_u32_e32 v29, vcc_lo, v5, v7, vcc_lo
	ds_load_2addr_b64 v[4:7], v14 offset0:76 offset1:178
	v_dual_mov_b32 v15, v41 :: v_dual_add_nc_u32 v14, 0x132, v40
	v_add_co_u32 v12, vcc_lo, v28, v12
	s_wait_alu 0xfffd
	v_add_co_ci_u32_e32 v13, vcc_lo, v29, v13, vcc_lo
	v_add_co_u32 v8, vcc_lo, v28, v8
	v_lshlrev_b64_e32 v[14:15], 3, v[14:15]
	s_wait_alu 0xfffd
	v_add_co_ci_u32_e32 v9, vcc_lo, v29, v9, vcc_lo
	v_add_co_u32 v10, vcc_lo, v28, v10
	s_wait_alu 0xfffd
	v_add_co_ci_u32_e32 v11, vcc_lo, v29, v11, vcc_lo
	v_add_co_u32 v14, vcc_lo, v28, v14
	s_wait_alu 0xfffd
	v_add_co_ci_u32_e32 v15, vcc_lo, v29, v15, vcc_lo
	s_wait_dscnt 0x1
	s_clause 0x1
	global_store_b64 v[12:13], v[0:1], off
	global_store_b64 v[8:9], v[2:3], off
	s_wait_dscnt 0x0
	s_clause 0x1
	global_store_b64 v[10:11], v[4:5], off
	global_store_b64 v[14:15], v[6:7], off
	v_lshlrev_b64_e32 v[4:5], 3, v[16:17]
	v_dual_mov_b32 v9, v41 :: v_dual_add_nc_u32 v6, 0x1fe, v40
	v_dual_mov_b32 v7, v41 :: v_dual_add_nc_u32 v14, 0x1000, v24
	v_mov_b32_e32 v19, v41
	ds_load_2addr_b64 v[0:3], v18 offset0:152 offset1:254
	v_add_co_u32 v10, vcc_lo, v28, v4
	v_dual_mov_b32 v15, v41 :: v_dual_add_nc_u32 v8, 0x264, v40
	s_wait_alu 0xfffd
	v_add_co_ci_u32_e32 v11, vcc_lo, v29, v5, vcc_lo
	v_lshlrev_b64_e32 v[12:13], 3, v[6:7]
	ds_load_2addr_b64 v[4:7], v14 offset0:100 offset1:202
	v_add_nc_u32_e32 v14, 0x2ca, v40
	v_lshlrev_b64_e32 v[8:9], 3, v[8:9]
	v_add_nc_u32_e32 v16, 0x330, v40
	v_add_nc_u32_e32 v18, 0x396, v40
	v_add_co_u32 v12, vcc_lo, v28, v12
	v_lshlrev_b64_e32 v[14:15], 3, v[14:15]
	s_wait_alu 0xfffd
	v_add_co_ci_u32_e32 v13, vcc_lo, v29, v13, vcc_lo
	v_add_co_u32 v8, vcc_lo, v28, v8
	s_wait_alu 0xfffd
	v_add_co_ci_u32_e32 v9, vcc_lo, v29, v9, vcc_lo
	v_add_co_u32 v14, vcc_lo, v28, v14
	s_wait_alu 0xfffd
	v_add_co_ci_u32_e32 v15, vcc_lo, v29, v15, vcc_lo
	s_wait_dscnt 0x1
	s_clause 0x1
	global_store_b64 v[10:11], v[0:1], off
	global_store_b64 v[12:13], v[2:3], off
	s_wait_dscnt 0x0
	s_clause 0x1
	global_store_b64 v[8:9], v[4:5], off
	global_store_b64 v[14:15], v[6:7], off
	v_mov_b32_e32 v11, v41
	v_lshlrev_b64_e32 v[4:5], 3, v[16:17]
	v_dual_mov_b32 v9, v41 :: v_dual_add_nc_u32 v8, 0x3fc, v40
	v_lshlrev_b64_e32 v[6:7], 3, v[18:19]
	v_add_nc_u32_e32 v10, 0x462, v40
	v_add_nc_u32_e32 v25, 0x2400, v24
	v_add_co_u32 v12, vcc_lo, v28, v4
	v_lshlrev_b64_e32 v[8:9], 3, v[8:9]
	s_wait_alu 0xfffd
	v_add_co_ci_u32_e32 v13, vcc_lo, v29, v5, vcc_lo
	v_add_co_u32 v14, vcc_lo, v28, v6
	s_wait_alu 0xfffd
	v_add_co_ci_u32_e32 v15, vcc_lo, v29, v7, vcc_lo
	v_add_co_u32 v16, vcc_lo, v28, v8
	s_wait_alu 0xfffd
	v_add_co_ci_u32_e32 v17, vcc_lo, v29, v9, vcc_lo
	v_lshlrev_b64_e32 v[8:9], 3, v[10:11]
	v_add_nc_u32_e32 v4, 0x1c00, v24
	v_add_nc_u32_e32 v10, 0x4c8, v40
	ds_load_2addr_b64 v[0:3], v20 offset0:48 offset1:150
	v_add_nc_u32_e32 v18, 0x52e, v40
	v_add_nc_u32_e32 v40, 0x594, v40
	ds_load_2addr_b64 v[4:7], v4 offset0:124 offset1:226
	v_add_co_u32 v20, vcc_lo, v28, v8
	s_wait_alu 0xfffd
	v_add_co_ci_u32_e32 v21, vcc_lo, v29, v9, vcc_lo
	v_lshlrev_b64_e32 v[22:23], 3, v[10:11]
	ds_load_2addr_b64 v[8:11], v25 offset0:72 offset1:174
	ds_load_b64 v[24:25], v24 offset:11424
	v_lshlrev_b64_e32 v[18:19], 3, v[18:19]
	v_lshlrev_b64_e32 v[26:27], 3, v[40:41]
	v_add_co_u32 v22, vcc_lo, v28, v22
	s_wait_alu 0xfffd
	v_add_co_ci_u32_e32 v23, vcc_lo, v29, v23, vcc_lo
	s_delay_alu instid0(VALU_DEP_4)
	v_add_co_u32 v18, vcc_lo, v28, v18
	s_wait_alu 0xfffd
	v_add_co_ci_u32_e32 v19, vcc_lo, v29, v19, vcc_lo
	v_add_co_u32 v26, vcc_lo, v28, v26
	s_wait_alu 0xfffd
	v_add_co_ci_u32_e32 v27, vcc_lo, v29, v27, vcc_lo
	s_wait_dscnt 0x3
	s_clause 0x1
	global_store_b64 v[12:13], v[0:1], off
	global_store_b64 v[14:15], v[2:3], off
	s_wait_dscnt 0x2
	s_clause 0x1
	global_store_b64 v[16:17], v[4:5], off
	global_store_b64 v[20:21], v[6:7], off
	;; [unrolled: 4-line block ×3, first 2 shown]
	s_wait_dscnt 0x0
	global_store_b64 v[26:27], v[24:25], off
.LBB0_29:
	s_nop 0
	s_sendmsg sendmsg(MSG_DEALLOC_VGPRS)
	s_endpgm
	.section	.rodata,"a",@progbits
	.p2align	6, 0x0
	.amdhsa_kernel fft_rtc_back_len1530_factors_17_3_6_5_wgs_102_tpt_102_halfLds_sp_op_CI_CI_unitstride_sbrr_C2R_dirReg
		.amdhsa_group_segment_fixed_size 0
		.amdhsa_private_segment_fixed_size 0
		.amdhsa_kernarg_size 104
		.amdhsa_user_sgpr_count 2
		.amdhsa_user_sgpr_dispatch_ptr 0
		.amdhsa_user_sgpr_queue_ptr 0
		.amdhsa_user_sgpr_kernarg_segment_ptr 1
		.amdhsa_user_sgpr_dispatch_id 0
		.amdhsa_user_sgpr_private_segment_size 0
		.amdhsa_wavefront_size32 1
		.amdhsa_uses_dynamic_stack 0
		.amdhsa_enable_private_segment 0
		.amdhsa_system_sgpr_workgroup_id_x 1
		.amdhsa_system_sgpr_workgroup_id_y 0
		.amdhsa_system_sgpr_workgroup_id_z 0
		.amdhsa_system_sgpr_workgroup_info 0
		.amdhsa_system_vgpr_workitem_id 0
		.amdhsa_next_free_vgpr 181
		.amdhsa_next_free_sgpr 39
		.amdhsa_reserve_vcc 1
		.amdhsa_float_round_mode_32 0
		.amdhsa_float_round_mode_16_64 0
		.amdhsa_float_denorm_mode_32 3
		.amdhsa_float_denorm_mode_16_64 3
		.amdhsa_fp16_overflow 0
		.amdhsa_workgroup_processor_mode 1
		.amdhsa_memory_ordered 1
		.amdhsa_forward_progress 0
		.amdhsa_round_robin_scheduling 0
		.amdhsa_exception_fp_ieee_invalid_op 0
		.amdhsa_exception_fp_denorm_src 0
		.amdhsa_exception_fp_ieee_div_zero 0
		.amdhsa_exception_fp_ieee_overflow 0
		.amdhsa_exception_fp_ieee_underflow 0
		.amdhsa_exception_fp_ieee_inexact 0
		.amdhsa_exception_int_div_zero 0
	.end_amdhsa_kernel
	.text
.Lfunc_end0:
	.size	fft_rtc_back_len1530_factors_17_3_6_5_wgs_102_tpt_102_halfLds_sp_op_CI_CI_unitstride_sbrr_C2R_dirReg, .Lfunc_end0-fft_rtc_back_len1530_factors_17_3_6_5_wgs_102_tpt_102_halfLds_sp_op_CI_CI_unitstride_sbrr_C2R_dirReg
                                        ; -- End function
	.section	.AMDGPU.csdata,"",@progbits
; Kernel info:
; codeLenInByte = 14484
; NumSgprs: 41
; NumVgprs: 181
; ScratchSize: 0
; MemoryBound: 0
; FloatMode: 240
; IeeeMode: 1
; LDSByteSize: 0 bytes/workgroup (compile time only)
; SGPRBlocks: 5
; VGPRBlocks: 22
; NumSGPRsForWavesPerEU: 41
; NumVGPRsForWavesPerEU: 181
; Occupancy: 8
; WaveLimiterHint : 1
; COMPUTE_PGM_RSRC2:SCRATCH_EN: 0
; COMPUTE_PGM_RSRC2:USER_SGPR: 2
; COMPUTE_PGM_RSRC2:TRAP_HANDLER: 0
; COMPUTE_PGM_RSRC2:TGID_X_EN: 1
; COMPUTE_PGM_RSRC2:TGID_Y_EN: 0
; COMPUTE_PGM_RSRC2:TGID_Z_EN: 0
; COMPUTE_PGM_RSRC2:TIDIG_COMP_CNT: 0
	.text
	.p2alignl 7, 3214868480
	.fill 96, 4, 3214868480
	.type	__hip_cuid_dec3bc8032a81802,@object ; @__hip_cuid_dec3bc8032a81802
	.section	.bss,"aw",@nobits
	.globl	__hip_cuid_dec3bc8032a81802
__hip_cuid_dec3bc8032a81802:
	.byte	0                               ; 0x0
	.size	__hip_cuid_dec3bc8032a81802, 1

	.ident	"AMD clang version 19.0.0git (https://github.com/RadeonOpenCompute/llvm-project roc-6.4.0 25133 c7fe45cf4b819c5991fe208aaa96edf142730f1d)"
	.section	".note.GNU-stack","",@progbits
	.addrsig
	.addrsig_sym __hip_cuid_dec3bc8032a81802
	.amdgpu_metadata
---
amdhsa.kernels:
  - .args:
      - .actual_access:  read_only
        .address_space:  global
        .offset:         0
        .size:           8
        .value_kind:     global_buffer
      - .offset:         8
        .size:           8
        .value_kind:     by_value
      - .actual_access:  read_only
        .address_space:  global
        .offset:         16
        .size:           8
        .value_kind:     global_buffer
      - .actual_access:  read_only
        .address_space:  global
        .offset:         24
        .size:           8
        .value_kind:     global_buffer
      - .actual_access:  read_only
        .address_space:  global
        .offset:         32
        .size:           8
        .value_kind:     global_buffer
      - .offset:         40
        .size:           8
        .value_kind:     by_value
      - .actual_access:  read_only
        .address_space:  global
        .offset:         48
        .size:           8
        .value_kind:     global_buffer
      - .actual_access:  read_only
        .address_space:  global
        .offset:         56
        .size:           8
        .value_kind:     global_buffer
      - .offset:         64
        .size:           4
        .value_kind:     by_value
      - .actual_access:  read_only
        .address_space:  global
        .offset:         72
        .size:           8
        .value_kind:     global_buffer
      - .actual_access:  read_only
        .address_space:  global
        .offset:         80
        .size:           8
        .value_kind:     global_buffer
      - .actual_access:  read_only
        .address_space:  global
        .offset:         88
        .size:           8
        .value_kind:     global_buffer
      - .actual_access:  write_only
        .address_space:  global
        .offset:         96
        .size:           8
        .value_kind:     global_buffer
    .group_segment_fixed_size: 0
    .kernarg_segment_align: 8
    .kernarg_segment_size: 104
    .language:       OpenCL C
    .language_version:
      - 2
      - 0
    .max_flat_workgroup_size: 102
    .name:           fft_rtc_back_len1530_factors_17_3_6_5_wgs_102_tpt_102_halfLds_sp_op_CI_CI_unitstride_sbrr_C2R_dirReg
    .private_segment_fixed_size: 0
    .sgpr_count:     41
    .sgpr_spill_count: 0
    .symbol:         fft_rtc_back_len1530_factors_17_3_6_5_wgs_102_tpt_102_halfLds_sp_op_CI_CI_unitstride_sbrr_C2R_dirReg.kd
    .uniform_work_group_size: 1
    .uses_dynamic_stack: false
    .vgpr_count:     181
    .vgpr_spill_count: 0
    .wavefront_size: 32
    .workgroup_processor_mode: 1
amdhsa.target:   amdgcn-amd-amdhsa--gfx1201
amdhsa.version:
  - 1
  - 2
...

	.end_amdgpu_metadata
